;; amdgpu-corpus repo=ROCm/rocSOLVER kind=compiled arch=gfx1030 opt=O3
	.amdgcn_target "amdgcn-amd-amdhsa--gfx1030"
	.amdhsa_code_object_version 6
	.section	.text._ZN9rocsolver6v33100L10reset_infoIiiiEEvPT_T0_T1_S4_,"axG",@progbits,_ZN9rocsolver6v33100L10reset_infoIiiiEEvPT_T0_T1_S4_,comdat
	.globl	_ZN9rocsolver6v33100L10reset_infoIiiiEEvPT_T0_T1_S4_ ; -- Begin function _ZN9rocsolver6v33100L10reset_infoIiiiEEvPT_T0_T1_S4_
	.p2align	8
	.type	_ZN9rocsolver6v33100L10reset_infoIiiiEEvPT_T0_T1_S4_,@function
_ZN9rocsolver6v33100L10reset_infoIiiiEEvPT_T0_T1_S4_: ; @_ZN9rocsolver6v33100L10reset_infoIiiiEEvPT_T0_T1_S4_
; %bb.0:
	s_clause 0x1
	s_load_dword s7, s[4:5], 0x24
	s_load_dwordx4 s[0:3], s[4:5], 0x8
	s_waitcnt lgkmcnt(0)
	s_and_b32 s3, s7, 0xffff
	v_mad_u64_u32 v[0:1], null, s6, s3, v[0:1]
	v_cmp_gt_i32_e32 vcc_lo, s0, v0
	s_and_saveexec_b32 s0, vcc_lo
	s_cbranch_execz .LBB0_2
; %bb.1:
	s_load_dwordx2 s[4:5], s[4:5], 0x0
	v_ashrrev_i32_e32 v1, 31, v0
	s_mov_b32 s0, s1
	v_mad_u64_u32 v[3:4], null, v0, s2, s[0:1]
	v_lshlrev_b64 v[1:2], 2, v[0:1]
	s_waitcnt lgkmcnt(0)
	v_add_co_u32 v0, vcc_lo, s4, v1
	v_add_co_ci_u32_e64 v1, null, s5, v2, vcc_lo
	global_store_dword v[0:1], v3, off
.LBB0_2:
	s_endpgm
	.section	.rodata,"a",@progbits
	.p2align	6, 0x0
	.amdhsa_kernel _ZN9rocsolver6v33100L10reset_infoIiiiEEvPT_T0_T1_S4_
		.amdhsa_group_segment_fixed_size 0
		.amdhsa_private_segment_fixed_size 0
		.amdhsa_kernarg_size 280
		.amdhsa_user_sgpr_count 6
		.amdhsa_user_sgpr_private_segment_buffer 1
		.amdhsa_user_sgpr_dispatch_ptr 0
		.amdhsa_user_sgpr_queue_ptr 0
		.amdhsa_user_sgpr_kernarg_segment_ptr 1
		.amdhsa_user_sgpr_dispatch_id 0
		.amdhsa_user_sgpr_flat_scratch_init 0
		.amdhsa_user_sgpr_private_segment_size 0
		.amdhsa_wavefront_size32 1
		.amdhsa_uses_dynamic_stack 0
		.amdhsa_system_sgpr_private_segment_wavefront_offset 0
		.amdhsa_system_sgpr_workgroup_id_x 1
		.amdhsa_system_sgpr_workgroup_id_y 0
		.amdhsa_system_sgpr_workgroup_id_z 0
		.amdhsa_system_sgpr_workgroup_info 0
		.amdhsa_system_vgpr_workitem_id 0
		.amdhsa_next_free_vgpr 5
		.amdhsa_next_free_sgpr 8
		.amdhsa_reserve_vcc 1
		.amdhsa_reserve_flat_scratch 0
		.amdhsa_float_round_mode_32 0
		.amdhsa_float_round_mode_16_64 0
		.amdhsa_float_denorm_mode_32 3
		.amdhsa_float_denorm_mode_16_64 3
		.amdhsa_dx10_clamp 1
		.amdhsa_ieee_mode 1
		.amdhsa_fp16_overflow 0
		.amdhsa_workgroup_processor_mode 1
		.amdhsa_memory_ordered 1
		.amdhsa_forward_progress 1
		.amdhsa_shared_vgpr_count 0
		.amdhsa_exception_fp_ieee_invalid_op 0
		.amdhsa_exception_fp_denorm_src 0
		.amdhsa_exception_fp_ieee_div_zero 0
		.amdhsa_exception_fp_ieee_overflow 0
		.amdhsa_exception_fp_ieee_underflow 0
		.amdhsa_exception_fp_ieee_inexact 0
		.amdhsa_exception_int_div_zero 0
	.end_amdhsa_kernel
	.section	.text._ZN9rocsolver6v33100L10reset_infoIiiiEEvPT_T0_T1_S4_,"axG",@progbits,_ZN9rocsolver6v33100L10reset_infoIiiiEEvPT_T0_T1_S4_,comdat
.Lfunc_end0:
	.size	_ZN9rocsolver6v33100L10reset_infoIiiiEEvPT_T0_T1_S4_, .Lfunc_end0-_ZN9rocsolver6v33100L10reset_infoIiiiEEvPT_T0_T1_S4_
                                        ; -- End function
	.set _ZN9rocsolver6v33100L10reset_infoIiiiEEvPT_T0_T1_S4_.num_vgpr, 5
	.set _ZN9rocsolver6v33100L10reset_infoIiiiEEvPT_T0_T1_S4_.num_agpr, 0
	.set _ZN9rocsolver6v33100L10reset_infoIiiiEEvPT_T0_T1_S4_.numbered_sgpr, 8
	.set _ZN9rocsolver6v33100L10reset_infoIiiiEEvPT_T0_T1_S4_.num_named_barrier, 0
	.set _ZN9rocsolver6v33100L10reset_infoIiiiEEvPT_T0_T1_S4_.private_seg_size, 0
	.set _ZN9rocsolver6v33100L10reset_infoIiiiEEvPT_T0_T1_S4_.uses_vcc, 1
	.set _ZN9rocsolver6v33100L10reset_infoIiiiEEvPT_T0_T1_S4_.uses_flat_scratch, 0
	.set _ZN9rocsolver6v33100L10reset_infoIiiiEEvPT_T0_T1_S4_.has_dyn_sized_stack, 0
	.set _ZN9rocsolver6v33100L10reset_infoIiiiEEvPT_T0_T1_S4_.has_recursion, 0
	.set _ZN9rocsolver6v33100L10reset_infoIiiiEEvPT_T0_T1_S4_.has_indirect_call, 0
	.section	.AMDGPU.csdata,"",@progbits
; Kernel info:
; codeLenInByte = 116
; TotalNumSgprs: 10
; NumVgprs: 5
; ScratchSize: 0
; MemoryBound: 0
; FloatMode: 240
; IeeeMode: 1
; LDSByteSize: 0 bytes/workgroup (compile time only)
; SGPRBlocks: 0
; VGPRBlocks: 0
; NumSGPRsForWavesPerEU: 10
; NumVGPRsForWavesPerEU: 5
; Occupancy: 16
; WaveLimiterHint : 0
; COMPUTE_PGM_RSRC2:SCRATCH_EN: 0
; COMPUTE_PGM_RSRC2:USER_SGPR: 6
; COMPUTE_PGM_RSRC2:TRAP_HANDLER: 0
; COMPUTE_PGM_RSRC2:TGID_X_EN: 1
; COMPUTE_PGM_RSRC2:TGID_Y_EN: 0
; COMPUTE_PGM_RSRC2:TGID_Z_EN: 0
; COMPUTE_PGM_RSRC2:TIDIG_COMP_CNT: 0
	.section	.text._ZN9rocsolver6v33100L12stein_kernelIffPfEEviPT0_lS4_lPiS4_lS5_lS5_lT1_iilS5_lS5_S4_S5_S3_S3_,"axG",@progbits,_ZN9rocsolver6v33100L12stein_kernelIffPfEEviPT0_lS4_lPiS4_lS5_lS5_lT1_iilS5_lS5_S4_S5_S3_S3_,comdat
	.globl	_ZN9rocsolver6v33100L12stein_kernelIffPfEEviPT0_lS4_lPiS4_lS5_lS5_lT1_iilS5_lS5_S4_S5_S3_S3_ ; -- Begin function _ZN9rocsolver6v33100L12stein_kernelIffPfEEviPT0_lS4_lPiS4_lS5_lS5_lT1_iilS5_lS5_S4_S5_S3_S3_
	.p2align	8
	.type	_ZN9rocsolver6v33100L12stein_kernelIffPfEEviPT0_lS4_lPiS4_lS5_lS5_lT1_iilS5_lS5_S4_S5_S3_S3_,@function
_ZN9rocsolver6v33100L12stein_kernelIffPfEEviPT0_lS4_lPiS4_lS5_lS5_lT1_iilS5_lS5_S4_S5_S3_S3_: ; @_ZN9rocsolver6v33100L12stein_kernelIffPfEEviPT0_lS4_lPiS4_lS5_lS5_lT1_iilS5_lS5_S4_S5_S3_S3_
; %bb.0:
	s_load_dwordx16 s[8:23], s[4:5], 0x8
	s_mov_b32 s2, s7
	s_ashr_i32 s3, s7, 31
	s_lshl_b64 s[34:35], s[2:3], 2
	s_waitcnt lgkmcnt(0)
	s_add_u32 s0, s16, s34
	s_addc_u32 s1, s17, s35
	s_load_dword s16, s[0:1], 0x0
	s_waitcnt lgkmcnt(0)
	s_cmp_lt_i32 s16, 1
	s_cbranch_scc1 .LBB1_254
; %bb.1:
	s_clause 0x1
	s_load_dwordx8 s[24:31], s[4:5], 0x70
	s_load_dwordx4 s[44:47], s[4:5], 0x90
	s_mov_b64 s[48:49], 0
	s_waitcnt lgkmcnt(0)
	s_cmp_eq_u64 s[26:27], 0
	s_cbranch_scc1 .LBB1_3
; %bb.2:
	s_mul_i32 s0, s28, s3
	s_mul_hi_u32 s1, s28, s2
	s_mul_i32 s6, s29, s2
	s_add_i32 s0, s1, s0
	s_add_i32 s1, s0, s6
	s_mul_i32 s0, s28, s2
	s_lshl_b64 s[0:1], s[0:1], 2
	s_add_u32 s48, s26, s0
	s_addc_u32 s49, s27, s1
.LBB1_3:
	v_cmp_eq_u32_e64 s0, 0, v0
	s_and_saveexec_b32 s1, s0
; %bb.4:
	v_mov_b32_e32 v1, 0
	ds_write_b32 v1, v1
; %bb.5:
	s_or_b32 exec_lo, exec_lo, s1
	v_cmp_gt_u32_e32 vcc_lo, s16, v0
	s_cmp_lg_u64 s[48:49], 0
	v_lshlrev_b32_e32 v5, 2, v0
	s_cselect_b32 s26, -1, 0
	s_and_b32 s1, vcc_lo, s26
	s_and_saveexec_b32 s6, s1
	s_cbranch_execz .LBB1_8
; %bb.6:
	v_add_co_u32 v1, s1, s48, v5
	v_mov_b32_e32 v3, 0
	v_add_co_ci_u32_e64 v2, null, s49, 0, s1
	v_mov_b32_e32 v4, v0
	s_mov_b32 s7, 0
.LBB1_7:                                ; =>This Inner Loop Header: Depth=1
	v_add_nc_u32_e32 v4, 0x100, v4
	global_store_dword v[1:2], v3, off
	v_add_co_u32 v1, s1, 0x400, v1
	v_add_co_ci_u32_e64 v2, null, 0, v2, s1
	v_cmp_le_i32_e32 vcc_lo, s16, v4
	s_or_b32 s7, vcc_lo, s7
	s_andn2_b32 exec_lo, exec_lo, s7
	s_cbranch_execnz .LBB1_7
.LBB1_8:
	s_or_b32 exec_lo, exec_lo, s6
	s_load_dwordx8 s[36:43], s[4:5], 0x48
	s_mov_b32 s27, 0
	v_mov_b32_e32 v2, 0
	s_mov_b32 s17, s27
	s_waitcnt lgkmcnt(0)
	s_mul_i32 s1, s36, s3
	s_mul_hi_u32 s6, s36, s2
	s_mul_i32 s7, s37, s2
	s_add_i32 s1, s6, s1
	s_mul_i32 s6, s36, s2
	s_add_i32 s7, s1, s7
	s_lshl_b64 s[6:7], s[6:7], 2
	s_add_u32 s33, s22, s6
	s_addc_u32 s78, s23, s7
	s_lshl_b64 s[6:7], s[16:17], 2
	s_add_u32 s22, s33, s6
	s_addc_u32 s23, s78, s7
	global_load_dword v1, v2, s[22:23] offset:-4
	s_waitcnt vmcnt(0)
	v_cmp_gt_i32_e32 vcc_lo, 1, v1
	s_cbranch_vccnz .LBB1_252
; %bb.9:
	s_mul_i32 s1, s10, s3
	s_mul_hi_u32 s7, s10, s2
	s_load_dword s28, s[4:5], 0x0
	s_mul_i32 s11, s11, s2
	s_add_i32 s1, s7, s1
	s_mul_i32 s6, s10, s2
	s_mul_i32 s37, s14, s3
	s_mul_hi_u32 s50, s14, s2
	s_mul_i32 s51, s15, s2
	s_mul_i32 s36, s14, s2
	s_add_i32 s7, s1, s11
	s_clause 0x1
	s_load_dwordx2 s[10:11], s[4:5], 0x68
	s_load_dwordx2 s[14:15], s[4:5], 0xa0
	s_lshl_b64 s[4:5], s[6:7], 2
	s_mul_i32 s52, s20, s3
	s_mul_hi_u32 s53, s20, s2
	v_add_nc_u32_e32 v22, 8, v5
	v_mov_b32_e32 v24, 1.0
	v_mov_b32_e32 v25, 1
	v_mov_b32_e32 v26, 8
	s_mov_b32 s93, 0
                                        ; implicit-def: $vgpr28
                                        ; implicit-def: $vgpr29
                                        ; implicit-def: $vgpr30
                                        ; implicit-def: $sgpr55
                                        ; implicit-def: $vgpr27
	s_waitcnt lgkmcnt(0)
	s_ashr_i32 s29, s28, 31
	s_add_u32 s17, s8, s4
	s_addc_u32 s79, s9, s5
	s_add_i32 s1, s50, s37
	s_mul_i32 s5, s21, s2
	s_add_i32 s37, s1, s51
	s_mul_i32 s4, s20, s2
	s_lshl_b64 s[6:7], s[36:37], 2
	s_mul_i32 s1, s40, s3
	v_div_scale_f32 v3, null, s15, s15, 1.0
	s_add_u32 s80, s12, s6
	s_addc_u32 s81, s13, s7
	s_add_i32 s6, s53, s52
	v_rcp_f32_e32 v4, v3
	s_add_i32 s5, s6, s5
	s_mul_hi_u32 s7, s40, s2
	s_lshl_b64 s[4:5], s[4:5], 2
	s_mul_i32 s8, s41, s2
	s_add_u32 s82, s18, s4
	s_addc_u32 s83, s19, s5
	s_add_i32 s1, s7, s1
	s_mul_i32 s6, s40, s2
	s_add_i32 s7, s1, s8
	v_fma_f32 v6, -v3, v4, 1.0
	s_mul_i32 s4, s28, 5
	s_lshl_b64 s[6:7], s[6:7], 2
	s_mul_hi_i32 s5, s4, s2
	s_mul_i32 s4, s4, s2
	s_add_u32 s84, s38, s6
	v_fmac_f32_e32 v4, v6, v4
	v_div_scale_f32 v6, vcc_lo, 1.0, s15, 1.0
	s_addc_u32 s85, s39, s7
	s_lshl_b64 s[6:7], s[4:5], 2
	s_mul_hi_i32 s5, s28, s2
	s_mul_i32 s4, s28, s2
	s_add_u32 s12, s44, s6
	s_addc_u32 s13, s45, s7
	s_lshl_b64 s[4:5], s[4:5], 2
	s_mul_i32 s1, s24, s3
	s_mul_hi_u32 s3, s24, s2
	v_mul_f32_e32 v7, v6, v4
	s_add_u32 s18, s46, s4
	s_addc_u32 s19, s47, s5
	s_add_i32 s1, s3, s1
	s_mul_i32 s3, s25, s2
	s_mul_i32 s2, s24, s2
	s_add_i32 s3, s1, s3
	v_fma_f32 v8, -v3, v7, v6
	s_lshl_b64 s[2:3], s[2:3], 2
	s_ashr_i32 s5, s10, 31
	s_mov_b32 s4, s10
	s_add_u32 s1, s42, s2
	s_addc_u32 s8, s43, s3
	s_lshl_b64 s[2:3], s[4:5], 2
	s_mul_i32 s20, s28, 3
	v_fmac_f32_e32 v7, v8, v4
	s_add_u32 s10, s1, s2
	s_addc_u32 s86, s8, s3
	s_ashr_i32 s21, s20, 31
	v_max_f32_e64 v8, s14, s14
	s_lshl_b64 s[8:9], s[20:21], 2
	v_fma_f32 v3, -v3, v7, v6
	v_add_nc_u32_e32 v6, s28, v0
	s_add_u32 s24, s12, s8
	s_addc_u32 s25, s13, s9
	s_lshl_b64 s[2:3], s[28:29], 3
	v_div_fmas_f32 v3, v3, v4, v7
	s_sub_u32 s21, 0, s2
	s_subb_u32 s87, 0, s3
	v_ashrrev_i32_e32 v7, 31, v6
	s_add_u32 s36, s24, s21
	s_addc_u32 s37, s25, s87
	s_lshl_b64 s[4:5], s[28:29], 2
	v_div_fixup_f32 v23, v3, s15, 1.0
	s_add_u32 s38, s36, s4
	s_addc_u32 s39, s37, s5
	v_lshlrev_b64 v[6:7], 2, v[6:7]
	s_add_u32 s40, s38, s2
	s_addc_u32 s41, s39, s3
	s_and_b32 s29, s0, s26
	s_add_u32 s88, s80, 4
	s_addc_u32 s89, s81, 0
	s_add_u32 s90, s17, 4
	v_add_co_u32 v3, s5, s12, v5
	v_max_f32_e32 v21, 0, v8
	s_addc_u32 s91, s79, 0
	v_add_co_u32 v8, vcc_lo, s12, v6
	v_add_co_ci_u32_e64 v4, null, s13, 0, s5
	s_add_u32 s5, s6, s8
	s_addc_u32 s6, s7, s9
	v_add_co_ci_u32_e64 v9, null, s13, v7, vcc_lo
	s_add_u32 s5, s44, s5
	s_addc_u32 s6, s45, s6
	v_add_co_u32 v5, s7, s5, v5
	v_add_co_u32 v7, vcc_lo, v8, 4
	s_lshl_b32 s92, s28, 1
	v_cmp_gt_u32_e64 s1, 0x80, v0
	v_cmp_gt_u32_e64 s2, 64, v0
	;; [unrolled: 1-line block ×3, first 2 shown]
	v_cmp_gt_i32_e64 s4, s28, v0
	v_add_co_ci_u32_e64 v6, null, s6, 0, s7
	v_add_co_ci_u32_e64 v8, null, 0, v9, vcc_lo
	s_add_u32 s42, s5, 8
	s_addc_u32 s43, s6, 0
	s_add_u32 s44, s12, 4
	s_mov_b32 s46, 0x9999999a
	s_mov_b32 s50, 0xff800000
	s_addc_u32 s45, s13, 0
	s_mov_b32 s47, 0x3fb99999
	s_mov_b32 s51, 0x41dfffff
	;; [unrolled: 1-line block ×3, first 2 shown]
	s_branch .LBB1_12
.LBB1_10:                               ;   in Loop: Header=BB1_12 Depth=1
	global_load_dword v1, v2, s[22:23] offset:-4
	s_mov_b32 s93, s8
.LBB1_11:                               ;   in Loop: Header=BB1_12 Depth=1
	s_add_i32 s52, s52, 1
	s_waitcnt vmcnt(0)
	v_cmp_ge_i32_e32 vcc_lo, s52, v1
	s_cbranch_vccnz .LBB1_252
.LBB1_12:                               ; =>This Loop Header: Depth=1
                                        ;     Child Loop BB1_17 Depth 2
                                        ;     Child Loop BB1_21 Depth 2
                                        ;       Child Loop BB1_31 Depth 3
                                        ;       Child Loop BB1_34 Depth 3
	;; [unrolled: 1-line block ×5, first 2 shown]
                                        ;         Child Loop BB1_105 Depth 4
                                        ;         Child Loop BB1_108 Depth 4
	;; [unrolled: 1-line block ×4, first 2 shown]
                                        ;           Child Loop BB1_124 Depth 5
                                        ;         Child Loop BB1_138 Depth 4
                                        ;           Child Loop BB1_139 Depth 5
                                        ;           Child Loop BB1_141 Depth 5
                                        ;         Child Loop BB1_146 Depth 4
                                        ;       Child Loop BB1_189 Depth 3
                                        ;       Child Loop BB1_228 Depth 3
	;; [unrolled: 1-line block ×4, first 2 shown]
	s_mov_b32 s54, 0
	s_cmp_eq_u32 s52, 0
	s_mov_b64 s[6:7], 0
	s_cbranch_scc1 .LBB1_14
; %bb.13:                               ;   in Loop: Header=BB1_12 Depth=1
	s_mov_b32 s53, s27
	s_lshl_b64 s[6:7], s[52:53], 2
	s_add_u32 s6, s84, s6
	s_addc_u32 s7, s85, s7
	global_load_dword v9, v2, s[6:7] offset:-4
	s_mov_b64 s[6:7], s[52:53]
	s_waitcnt vmcnt(0)
	v_readfirstlane_b32 s54, v9
.LBB1_14:                               ;   in Loop: Header=BB1_12 Depth=1
	s_lshl_b64 s[6:7], s[6:7], 2
	s_add_u32 s6, s84, s6
	s_addc_u32 s7, s85, s7
	s_not_b32 s5, s54
	global_load_dword v9, v2, s[6:7]
	s_waitcnt vmcnt(0)
	v_readfirstlane_b32 s56, v9
	s_add_i32 s58, s5, s56
	s_sub_i32 s53, s56, s54
	s_cmp_lt_i32 s58, 1
	s_cselect_b32 s94, -1, 0
	s_and_b32 vcc_lo, exec_lo, s94
	s_cbranch_vccnz .LBB1_19
; %bb.15:                               ;   in Loop: Header=BB1_12 Depth=1
	s_ashr_i32 s55, s54, 31
	s_lshl_b64 s[8:9], s[54:55], 2
	s_add_u32 s6, s17, s8
	s_addc_u32 s7, s79, s9
	s_add_u32 s60, s80, s8
	s_addc_u32 s61, s81, s9
	s_ashr_i32 s57, s56, 31
	s_lshl_b64 s[62:63], s[56:57], 2
	s_add_u32 s64, s17, s62
	s_addc_u32 s65, s79, s63
	s_add_i32 s5, s56, -2
	s_add_u32 s62, s80, s62
	s_addc_u32 s63, s81, s63
	s_clause 0x3
	global_load_dword v10, v2, s[6:7]
	global_load_dword v9, v2, s[60:61]
	global_load_dword v11, v2, s[64:65] offset:-4
	global_load_dword v12, v2, s[62:63] offset:-8
	s_cmp_ge_i32 s54, s5
	s_waitcnt vmcnt(2)
	v_add_f32_e64 v10, |v10|, |v9|
	s_waitcnt vmcnt(0)
	v_add_f32_e64 v11, |v11|, |v12|
	v_cmp_lt_f32_e32 vcc_lo, v10, v11
	v_cndmask_b32_e32 v27, v10, v11, vcc_lo
	s_cbranch_scc1 .LBB1_18
; %bb.16:                               ;   in Loop: Header=BB1_12 Depth=1
	s_add_u32 s6, s88, s8
	s_addc_u32 s7, s89, s9
	s_add_u32 s8, s90, s8
	s_addc_u32 s9, s91, s9
	s_mov_b32 s26, s54
	.p2align	6
.LBB1_17:                               ;   Parent Loop BB1_12 Depth=1
                                        ; =>  This Inner Loop Header: Depth=2
	global_load_dword v10, v2, s[8:9]
	s_add_i32 s26, s26, 1
	s_waitcnt vmcnt(0)
	v_add_f32_e64 v10, |v9|, |v10|
	global_load_dword v9, v2, s[6:7]
	s_add_u32 s6, s6, 4
	s_addc_u32 s7, s7, 0
	s_add_u32 s8, s8, 4
	s_addc_u32 s9, s9, 0
	s_cmp_lt_i32 s26, s5
	s_waitcnt vmcnt(0)
	v_add_f32_e64 v10, v10, |v9|
	v_cmp_lt_f32_e32 vcc_lo, v27, v10
	v_cndmask_b32_e32 v27, v27, v10, vcc_lo
	s_cbranch_scc1 .LBB1_17
.LBB1_18:                               ;   in Loop: Header=BB1_12 Depth=1
	v_cvt_f64_u32_e32 v[9:10], s53
	v_mul_f32_e32 v30, 0x3a83126f, v27
	s_mov_b32 s55, s93
	v_div_scale_f64 v[11:12], null, v[9:10], v[9:10], s[46:47]
	v_div_scale_f64 v[17:18], vcc_lo, s[46:47], v[9:10], s[46:47]
	v_rcp_f64_e32 v[13:14], v[11:12]
	v_fma_f64 v[15:16], -v[11:12], v[13:14], 1.0
	v_fma_f64 v[13:14], v[13:14], v[15:16], v[13:14]
	v_fma_f64 v[15:16], -v[11:12], v[13:14], 1.0
	v_fma_f64 v[13:14], v[13:14], v[15:16], v[13:14]
	v_mul_f64 v[15:16], v[17:18], v[13:14]
	v_fma_f64 v[11:12], -v[11:12], v[15:16], v[17:18]
	v_div_fmas_f64 v[11:12], v[11:12], v[13:14], v[15:16]
	v_div_fixup_f64 v[9:10], v[11:12], v[9:10], s[46:47]
	v_cmp_gt_f64_e32 vcc_lo, 0x10000000, v[9:10]
	s_and_b32 s5, vcc_lo, exec_lo
	s_cselect_b32 s5, 0x100, 0
	v_ldexp_f64 v[9:10], v[9:10], s5
	s_cselect_b32 s5, 0xffffff80, 0
	v_rsq_f64_e32 v[11:12], v[9:10]
	v_cmp_class_f64_e64 vcc_lo, v[9:10], 0x260
	v_mul_f64 v[13:14], v[9:10], v[11:12]
	v_mul_f64 v[11:12], v[11:12], 0.5
	v_fma_f64 v[15:16], -v[11:12], v[13:14], 0.5
	v_fma_f64 v[13:14], v[13:14], v[15:16], v[13:14]
	v_fma_f64 v[11:12], v[11:12], v[15:16], v[11:12]
	v_fma_f64 v[15:16], -v[13:14], v[13:14], v[9:10]
	v_fma_f64 v[13:14], v[15:16], v[11:12], v[13:14]
	v_fma_f64 v[15:16], -v[13:14], v[13:14], v[9:10]
	v_fma_f64 v[11:12], v[15:16], v[11:12], v[13:14]
	v_ldexp_f64 v[11:12], v[11:12], s5
	v_cndmask_b32_e32 v10, v12, v10, vcc_lo
	v_cndmask_b32_e32 v9, v11, v9, vcc_lo
	v_cvt_f32_f64_e32 v29, v[9:10]
.LBB1_19:                               ;   in Loop: Header=BB1_12 Depth=1
	s_cmp_ge_i32 s93, s16
	s_cbranch_scc1 .LBB1_11
; %bb.20:                               ;   in Loop: Header=BB1_12 Depth=1
	v_add_nc_u32_e32 v9, s54, v0
	s_ashr_i32 s57, s56, 31
	s_mov_b32 s59, s27
	s_lshl_b64 s[6:7], s[56:57], 2
	v_cvt_f32_u32_e32 v1, s53
	v_ashrrev_i32_e32 v10, 31, v9
	s_add_u32 s60, s17, s6
	s_addc_u32 s61, s79, s7
	s_add_i32 s6, s58, s20
	v_cmp_ge_i32_e64 s5, s58, v0
	s_ashr_i32 s7, s6, 31
	v_lshlrev_b64 v[11:12], 2, v[9:10]
	s_lshl_b64 s[6:7], s[6:7], 2
	v_mul_f32_e32 v31, v27, v1
	s_add_u32 s62, s12, s6
	s_addc_u32 s63, s13, s7
	s_lshl_b64 s[8:9], s[58:59], 2
	v_add_co_u32 v9, vcc_lo, s17, v11
	s_add_u32 s64, s18, s8
	s_addc_u32 s65, s19, s9
	s_add_i32 s59, s58, -1
	v_add_co_ci_u32_e64 v10, null, s79, v12, vcc_lo
	v_add_co_u32 v11, vcc_lo, s80, v11
	s_add_u32 s66, s24, s8
	v_cmp_gt_i32_e64 s6, s58, v0
	s_addc_u32 s67, s25, s9
	v_cmp_gt_u32_e64 s7, s53, v0
	v_add_co_ci_u32_e64 v12, null, s81, v12, vcc_lo
	v_mov_b32_e32 v1, v28
	s_cmp_gt_u32 s53, 2
	s_mul_i32 s57, s52, s16
	s_cselect_b32 s95, -1, 0
	s_mov_b32 s97, 0
	s_sub_i32 s96, 0, s54
	s_mul_i32 s98, s11, s93
	s_mov_b32 s68, s93
.LBB1_21:                               ;   Parent Loop BB1_12 Depth=1
                                        ; =>  This Loop Header: Depth=2
                                        ;       Child Loop BB1_31 Depth 3
                                        ;       Child Loop BB1_34 Depth 3
	;; [unrolled: 1-line block ×5, first 2 shown]
                                        ;         Child Loop BB1_105 Depth 4
                                        ;         Child Loop BB1_108 Depth 4
	;; [unrolled: 1-line block ×4, first 2 shown]
                                        ;           Child Loop BB1_124 Depth 5
                                        ;         Child Loop BB1_138 Depth 4
                                        ;           Child Loop BB1_139 Depth 5
                                        ;           Child Loop BB1_141 Depth 5
                                        ;         Child Loop BB1_146 Depth 4
                                        ;       Child Loop BB1_189 Depth 3
                                        ;       Child Loop BB1_228 Depth 3
	;; [unrolled: 1-line block ×4, first 2 shown]
	s_ashr_i32 s69, s68, 31
	s_mov_b32 s26, -1
	s_lshl_b64 s[8:9], s[68:69], 2
	s_add_u32 s70, s33, s8
	s_addc_u32 s71, s78, s9
	global_load_dword v13, v2, s[70:71]
	s_waitcnt vmcnt(0)
	v_add_nc_u32_e32 v13, -1, v13
	v_cmp_ne_u32_e32 vcc_lo, s52, v13
	s_cbranch_vccnz .LBB1_25
; %bb.22:                               ;   in Loop: Header=BB1_21 Depth=2
	s_add_u32 s8, s82, s8
	s_addc_u32 s9, s83, s9
	s_and_b32 vcc_lo, exec_lo, s94
	global_load_dword v28, v2, s[8:9]
	s_mov_b32 s8, -1
	s_cbranch_vccnz .LBB1_26
; %bb.23:                               ;   in Loop: Header=BB1_21 Depth=2
	s_and_b32 vcc_lo, exec_lo, s8
	s_cbranch_vccnz .LBB1_29
.LBB1_24:                               ;   in Loop: Header=BB1_21 Depth=2
	s_waitcnt vmcnt(0)
	s_waitcnt_vscnt null, 0x0
	buffer_gl0_inv
	s_and_saveexec_b32 s9, s4
	s_cbranch_execnz .LBB1_246
	s_branch .LBB1_250
.LBB1_25:                               ;   in Loop: Header=BB1_21 Depth=2
	v_mov_b32_e32 v28, v1
	s_mov_b32 s8, s68
                                        ; implicit-def: $sgpr97
                                        ; implicit-def: $sgpr98
	s_and_b32 vcc_lo, exec_lo, s26
	s_cbranch_vccz .LBB1_251
	s_branch .LBB1_10
.LBB1_26:                               ;   in Loop: Header=BB1_21 Depth=2
	s_and_saveexec_b32 s8, s0
	s_cbranch_execz .LBB1_28
; %bb.27:                               ;   in Loop: Header=BB1_21 Depth=2
	global_store_dword v2, v24, s[12:13]
.LBB1_28:                               ;   in Loop: Header=BB1_21 Depth=2
	s_or_b32 exec_lo, exec_lo, s8
	s_waitcnt vmcnt(0)
	s_waitcnt_vscnt null, 0x0
	s_barrier
	s_branch .LBB1_24
.LBB1_29:                               ;   in Loop: Header=BB1_21 Depth=2
	s_and_saveexec_b32 s9, s5
	s_cbranch_execz .LBB1_32
; %bb.30:                               ;   in Loop: Header=BB1_21 Depth=2
	s_add_i32 s8, s68, s57
	s_mov_b32 s26, 0
	v_lshl_or_b32 v15, s8, 8, v0
	v_add_nc_u32_e32 v13, 1, v15
	v_sub_nc_u32_e32 v17, 0x7ffffffe, v15
	v_mul_hi_i32 v14, 0x40000001, v13
	v_cmp_gt_u32_e32 vcc_lo, 0x7fffff07, v17
	v_lshrrev_b32_e32 v16, 31, v14
	v_ashrrev_i32_e32 v14, 29, v14
	v_add_nc_u32_e32 v14, v14, v16
	v_sub_nc_u32_e32 v16, 0xf7, v15
	v_mul_lo_u32 v14, 0x7fffffff, v14
	v_max_u32_e32 v16, 1, v16
	v_cndmask_b32_e32 v16, v16, v17, vcc_lo
	v_cmp_ne_u32_e32 vcc_lo, 0x7ffffffe, v15
	v_sub_nc_u32_e32 v17, v13, v14
	v_mov_b32_e32 v14, v4
	v_mov_b32_e32 v13, v3
	v_mov_b32_e32 v15, v0
	v_cndmask_b32_e32 v16, 1, v16, vcc_lo
	v_max_i32_e32 v17, 1, v17
.LBB1_31:                               ;   Parent Loop BB1_12 Depth=1
                                        ;     Parent Loop BB1_21 Depth=2
                                        ; =>    This Inner Loop Header: Depth=3
	v_mul_hi_i32 v18, 0x5e4789c9, v17
	v_mul_hi_i32 v19, 0x4f7a09cd, v16
	v_add_nc_u32_e32 v15, 0x100, v15
	v_lshrrev_b32_e32 v20, 31, v18
	v_ashrrev_i32_e32 v18, 14, v18
	v_lshrrev_b32_e32 v32, 31, v19
	v_ashrrev_i32_e32 v19, 14, v19
	v_add_nc_u32_e32 v18, v18, v20
	v_add_nc_u32_e32 v19, v19, v32
	v_mul_i32_i24_e32 v20, 0xadc8, v18
	v_mul_i32_i24_e32 v32, 0xce26, v19
	v_sub_nc_u32_e32 v17, v17, v20
	v_sub_nc_u32_e32 v16, v16, v32
	v_mul_lo_u32 v17, 0xbc8f, v17
	v_mul_lo_u32 v16, 0x9ef4, v16
	v_mad_i32_i24 v17, 0xfffff2b9, v18, v17
	v_mad_i32_i24 v16, 0xfffff131, v19, v16
	v_ashrrev_i32_e32 v18, 31, v17
	v_ashrrev_i32_e32 v19, 31, v16
	v_and_b32_e32 v18, 0x7fffffff, v18
	v_and_b32_e32 v19, 0x7fffff07, v19
	v_add_nc_u32_e32 v17, v18, v17
	v_add_nc_u32_e32 v16, v19, v16
	v_sub_nc_u32_e32 v18, v17, v16
	v_ashrrev_i32_e32 v19, 31, v18
	v_and_b32_e32 v19, 0x7fffffff, v19
	v_add_nc_u32_e32 v18, v19, v18
	v_cvt_f64_i32_e32 v[18:19], v18
	v_div_scale_f64 v[32:33], null, s[50:51], s[50:51], v[18:19]
	v_div_scale_f64 v[38:39], vcc_lo, v[18:19], s[50:51], v[18:19]
	v_rcp_f64_e32 v[34:35], v[32:33]
	v_fma_f64 v[36:37], -v[32:33], v[34:35], 1.0
	v_fma_f64 v[34:35], v[34:35], v[36:37], v[34:35]
	v_fma_f64 v[36:37], -v[32:33], v[34:35], 1.0
	v_fma_f64 v[34:35], v[34:35], v[36:37], v[34:35]
	v_mul_f64 v[36:37], v[38:39], v[34:35]
	v_fma_f64 v[32:33], -v[32:33], v[36:37], v[38:39]
	v_div_fmas_f64 v[32:33], v[32:33], v[34:35], v[36:37]
	v_cmp_lt_i32_e32 vcc_lo, s58, v15
	s_or_b32 s26, vcc_lo, s26
	v_div_fixup_f64 v[18:19], v[32:33], s[50:51], v[18:19]
	v_cvt_f32_f64_e32 v18, v[18:19]
	global_store_dword v[13:14], v18, off
	v_add_co_u32 v13, s8, 0x400, v13
	v_add_co_ci_u32_e64 v14, null, 0, v14, s8
	s_andn2_b32 exec_lo, exec_lo, s26
	s_cbranch_execnz .LBB1_31
.LBB1_32:                               ;   in Loop: Header=BB1_21 Depth=2
	s_or_b32 exec_lo, exec_lo, s9
	s_and_saveexec_b32 s9, s6
	s_cbranch_execz .LBB1_35
; %bb.33:                               ;   in Loop: Header=BB1_21 Depth=2
	v_mov_b32_e32 v14, v12
	v_mov_b32_e32 v16, v10
	;; [unrolled: 1-line block ×9, first 2 shown]
	s_mov_b32 s26, 0
	s_inst_prefetch 0x1
	.p2align	6
.LBB1_34:                               ;   Parent Loop BB1_12 Depth=1
                                        ;     Parent Loop BB1_21 Depth=2
                                        ; =>    This Inner Loop Header: Depth=3
	global_load_dword v33, v[15:16], off
	v_add_co_u32 v15, vcc_lo, 0x400, v15
	v_add_co_ci_u32_e64 v16, null, 0, v16, vcc_lo
	s_waitcnt vmcnt(0)
	global_store_dword v[19:20], v33, off
	global_load_dword v35, v[13:14], off
	v_add_nc_u32_e32 v33, s92, v32
	v_add_nc_u32_e32 v32, 0x100, v32
	v_ashrrev_i32_e32 v34, 31, v33
	v_cmp_le_i32_e32 vcc_lo, s58, v32
	v_lshlrev_b64 v[33:34], 2, v[33:34]
	s_or_b32 s26, vcc_lo, s26
	v_add_co_u32 v33, s8, s12, v33
	v_add_co_ci_u32_e64 v34, null, s13, v34, s8
	v_add_co_u32 v19, s8, 0x400, v19
	v_add_co_ci_u32_e64 v20, null, 0, v20, s8
	;; [unrolled: 2-line block ×3, first 2 shown]
	s_waitcnt vmcnt(0)
	global_store_dword v[33:34], v35, off
	global_store_dword v[17:18], v35, off
	v_add_co_u32 v17, s8, 0x400, v17
	v_add_co_ci_u32_e64 v18, null, 0, v18, s8
	s_andn2_b32 exec_lo, exec_lo, s26
	s_cbranch_execnz .LBB1_34
.LBB1_35:                               ;   in Loop: Header=BB1_21 Depth=2
	s_inst_prefetch 0x2
	s_or_b32 exec_lo, exec_lo, s9
	s_and_saveexec_b32 s8, s0
	s_cbranch_execz .LBB1_37
; %bb.36:                               ;   in Loop: Header=BB1_21 Depth=2
	global_load_dword v13, v2, s[60:61] offset:-4
	s_waitcnt vmcnt(0)
	global_store_dword v2, v13, s[62:63]
.LBB1_37:                               ;   in Loop: Header=BB1_21 Depth=2
	s_or_b32 exec_lo, exec_lo, s8
	s_waitcnt vmcnt(0)
	v_mul_f32_e32 v13, s14, v28
	v_sub_f32_e32 v14, v28, v1
	s_cmp_lg_u32 s97, 0
	s_waitcnt_vscnt null, 0x0
	s_cselect_b32 s69, -1, 0
	v_mul_f32_e64 v15, 0x41200000, |v13|
	v_fma_f32 v13, 0x41200000, |v13|, v1
	s_cmp_eq_u32 s97, 0
	s_barrier
	buffer_gl0_inv
	v_cmp_lt_f32_e32 vcc_lo, v14, v15
	v_cndmask_b32_e32 v13, v28, v13, vcc_lo
	s_cselect_b32 vcc_lo, -1, 0
	v_cndmask_b32_e32 v28, v13, v28, vcc_lo
	s_and_saveexec_b32 s26, s0
	s_cbranch_execz .LBB1_64
; %bb.38:                               ;   in Loop: Header=BB1_21 Depth=2
	global_load_dword v13, v2, s[24:25]
	s_mov_b64 s[8:9], 0
	s_mov_b32 s99, 1
	global_store_dword v2, v2, s[64:65]
	s_waitcnt vmcnt(0)
	v_sub_f32_e32 v13, v13, v28
	global_store_dword v2, v13, s[24:25]
	global_load_dword v14, v2, s[36:37] offset:4
	s_waitcnt vmcnt(0)
	v_add_f32_e64 v13, |v13|, |v14|
	s_branch .LBB1_40
.LBB1_39:                               ;   in Loop: Header=BB1_40 Depth=3
	s_add_u32 s8, s8, 4
	s_addc_u32 s9, s9, 0
	s_add_i32 s99, s99, 1
	s_cmp_eq_u32 s53, s99
	s_cbranch_scc1 .LBB1_61
.LBB1_40:                               ;   Parent Loop BB1_12 Depth=1
                                        ;     Parent Loop BB1_21 Depth=2
                                        ; =>    This Inner Loop Header: Depth=3
	s_add_i32 s74, s99, -1
	s_add_u32 s72, s24, s8
	s_addc_u32 s73, s25, s9
	s_add_u32 s70, s38, s8
	global_load_dword v14, v2, s[72:73] offset:4
	s_addc_u32 s71, s39, s9
	s_cmp_lt_u32 s74, s59
	s_cselect_b32 s104, -1, 0
	s_cmp_ge_u32 s74, s59
	s_waitcnt vmcnt(0)
	v_sub_f32_e32 v16, v14, v28
	global_store_dword v2, v16, s[72:73] offset:4
	global_load_dword v17, v2, s[70:71]
	s_waitcnt vmcnt(0)
	v_add_f32_e64 v14, |v16|, |v17|
	s_cbranch_scc1 .LBB1_42
; %bb.41:                               ;   in Loop: Header=BB1_40 Depth=3
	s_add_u32 s74, s36, s8
	s_addc_u32 s75, s37, s9
	global_load_dword v15, v2, s[74:75] offset:8
	s_waitcnt vmcnt(0)
	v_add_f32_e64 v14, v14, |v15|
.LBB1_42:                               ;   in Loop: Header=BB1_40 Depth=3
	global_load_dword v19, v2, s[72:73]
	s_waitcnt vmcnt(0)
	v_cmp_eq_f32_e32 vcc_lo, 0, v19
	s_cbranch_vccnz .LBB1_53
; %bb.43:                               ;   in Loop: Header=BB1_40 Depth=3
	v_and_b32_e32 v15, 0x7fffffff, v19
	v_div_scale_f32 v18, null, v13, v13, v15
	v_div_scale_f32 v15, vcc_lo, v15, v13, v15
	v_rcp_f32_e32 v20, v18
	v_fma_f32 v32, -v18, v20, 1.0
	v_fmac_f32_e32 v20, v32, v20
	v_mul_f32_e32 v32, v15, v20
	v_fma_f32 v33, -v18, v32, v15
	v_fmac_f32_e32 v32, v33, v20
	v_fma_f32 v15, -v18, v32, v15
	v_div_fmas_f32 v15, v15, v20, v32
	v_div_fixup_f32 v15, v15, v13, |v19|
	v_cmp_neq_f32_e32 vcc_lo, 0, v17
	s_cbranch_vccz .LBB1_54
.LBB1_44:                               ;   in Loop: Header=BB1_40 Depth=3
	v_and_b32_e32 v18, 0x7fffffff, v17
	s_add_u32 s74, s18, s8
	s_addc_u32 s75, s19, s9
	s_mov_b32 s76, -1
	v_div_scale_f32 v20, null, v14, v14, v18
	v_div_scale_f32 v18, vcc_lo, v18, v14, v18
	v_rcp_f32_e32 v32, v20
	v_fma_f32 v33, -v20, v32, 1.0
	v_fmac_f32_e32 v32, v33, v32
	v_mul_f32_e32 v33, v18, v32
	v_fma_f32 v34, -v20, v33, v18
	v_fmac_f32_e32 v33, v34, v32
	v_fma_f32 v18, -v20, v33, v18
	v_div_fmas_f32 v18, v18, v32, v33
	v_div_fixup_f32 v18, v18, v14, |v17|
	v_cmp_nle_f32_e32 vcc_lo, v18, v15
	s_cbranch_vccnz .LBB1_48
; %bb.45:                               ;   in Loop: Header=BB1_40 Depth=3
	v_div_scale_f32 v20, null, v19, v19, v17
	v_div_scale_f32 v34, vcc_lo, v17, v19, v17
	s_add_u32 s76, s36, s8
	v_rcp_f32_e32 v32, v20
	s_addc_u32 s77, s37, s9
	v_fma_f32 v33, -v20, v32, 1.0
	v_fmac_f32_e32 v32, v33, v32
	v_mul_f32_e32 v33, v34, v32
	v_fma_f32 v35, -v20, v33, v34
	v_fmac_f32_e32 v33, v35, v32
	v_fma_f32 v20, -v20, v33, v34
	v_div_fmas_f32 v20, v20, v32, v33
	s_andn2_b32 vcc_lo, exec_lo, s104
	v_div_fixup_f32 v20, v20, v19, v17
	global_store_dword v2, v20, s[70:71]
	s_clause 0x1
	global_load_dword v32, v2, s[72:73] offset:4
	global_load_dword v33, v2, s[76:77] offset:4
	s_waitcnt vmcnt(0)
	v_fma_f32 v20, -v20, v33, v32
	global_store_dword v2, v2, s[74:75]
	global_store_dword v2, v20, s[72:73] offset:4
	s_cbranch_vccnz .LBB1_47
; %bb.46:                               ;   in Loop: Header=BB1_40 Depth=3
	s_add_u32 s76, s40, s8
	s_addc_u32 s77, s41, s9
	global_store_dword v2, v2, s[76:77]
.LBB1_47:                               ;   in Loop: Header=BB1_40 Depth=3
	s_mov_b32 s76, 0
.LBB1_48:                               ;   in Loop: Header=BB1_40 Depth=3
	v_mov_b32_e32 v20, v14
	s_andn2_b32 vcc_lo, exec_lo, s76
	s_cbranch_vccnz .LBB1_52
; %bb.49:                               ;   in Loop: Header=BB1_40 Depth=3
	s_add_u32 s76, s36, s8
	s_addc_u32 s77, s37, s9
	global_store_dword v2, v17, s[72:73]
	global_load_dword v20, v2, s[76:77] offset:4
	v_div_scale_f32 v32, null, v17, v17, v19
	v_rcp_f32_e32 v33, v32
	v_fma_f32 v34, -v32, v33, 1.0
	v_fmac_f32_e32 v33, v34, v33
	v_div_scale_f32 v34, vcc_lo, v19, v17, v19
	v_mul_f32_e32 v35, v34, v33
	v_fma_f32 v36, -v32, v35, v34
	v_fmac_f32_e32 v35, v36, v33
	v_fma_f32 v32, -v32, v35, v34
	v_div_fmas_f32 v32, v32, v33, v35
	s_andn2_b32 vcc_lo, exec_lo, s104
	v_div_fixup_f32 v17, v32, v17, v19
	s_waitcnt vmcnt(0)
	v_fma_f32 v19, -v16, v17, v20
	global_store_dword v2, v25, s[74:75]
	global_store_dword v2, v19, s[72:73] offset:4
	s_cbranch_vccnz .LBB1_51
; %bb.50:                               ;   in Loop: Header=BB1_40 Depth=3
	global_load_dword v19, v2, s[76:77] offset:8
	s_add_u32 s72, s40, s8
	s_addc_u32 s73, s41, s9
	s_waitcnt vmcnt(0)
	v_mul_f32_e64 v20, v19, -v17
	global_store_dword v2, v19, s[72:73]
	global_store_dword v2, v20, s[76:77] offset:8
.LBB1_51:                               ;   in Loop: Header=BB1_40 Depth=3
	v_mov_b32_e32 v20, v13
	global_store_dword v2, v16, s[76:77] offset:4
	global_store_dword v2, v17, s[70:71]
.LBB1_52:                               ;   in Loop: Header=BB1_40 Depth=3
	v_mov_b32_e32 v13, v20
	s_cbranch_execz .LBB1_55
	s_branch .LBB1_58
.LBB1_53:                               ;   in Loop: Header=BB1_40 Depth=3
	v_mov_b32_e32 v15, 0
	v_cmp_neq_f32_e32 vcc_lo, 0, v17
	s_cbranch_vccnz .LBB1_44
.LBB1_54:                               ;   in Loop: Header=BB1_40 Depth=3
                                        ; implicit-def: $vgpr18
                                        ; implicit-def: $vgpr13
.LBB1_55:                               ;   in Loop: Header=BB1_40 Depth=3
	s_add_u32 s70, s18, s8
	s_addc_u32 s71, s19, s9
	s_andn2_b32 vcc_lo, exec_lo, s104
	global_store_dword v2, v2, s[70:71]
	s_cbranch_vccnz .LBB1_57
; %bb.56:                               ;   in Loop: Header=BB1_40 Depth=3
	s_add_u32 s70, s40, s8
	s_addc_u32 s71, s41, s9
	global_store_dword v2, v2, s[70:71]
.LBB1_57:                               ;   in Loop: Header=BB1_40 Depth=3
	v_mov_b32_e32 v18, 0
	v_mov_b32_e32 v13, v14
.LBB1_58:                               ;   in Loop: Header=BB1_40 Depth=3
	v_max_f32_e32 v14, v18, v18
	v_max_f32_e32 v15, v15, v15
	;; [unrolled: 1-line block ×3, first 2 shown]
	v_cmp_nle_f32_e32 vcc_lo, v14, v21
	s_cbranch_vccnz .LBB1_39
; %bb.59:                               ;   in Loop: Header=BB1_40 Depth=3
	global_load_dword v14, v2, s[64:65]
	s_waitcnt vmcnt(0)
	v_cmp_ne_u32_e32 vcc_lo, 0, v14
	s_cbranch_vccnz .LBB1_39
; %bb.60:                               ;   in Loop: Header=BB1_40 Depth=3
	v_mov_b32_e32 v14, s99
	global_store_dword v2, v14, s[64:65]
	s_branch .LBB1_39
.LBB1_61:                               ;   in Loop: Header=BB1_21 Depth=2
	global_load_dword v14, v2, s[66:67]
	v_mul_f32_e32 v13, v21, v13
	s_waitcnt vmcnt(0)
	v_cmp_le_f32_e64 s8, |v14|, v13
	s_and_b32 vcc_lo, exec_lo, s8
	s_cbranch_vccz .LBB1_64
; %bb.62:                               ;   in Loop: Header=BB1_21 Depth=2
	global_load_dword v13, v2, s[64:65]
	s_waitcnt vmcnt(0)
	v_cmp_ne_u32_e32 vcc_lo, 0, v13
	s_cbranch_vccnz .LBB1_64
; %bb.63:                               ;   in Loop: Header=BB1_21 Depth=2
	v_mov_b32_e32 v13, s53
	global_store_dword v2, v13, s[64:65]
.LBB1_64:                               ;   in Loop: Header=BB1_21 Depth=2
	s_or_b32 exec_lo, exec_lo, s26
	v_sub_f32_e32 v1, v28, v1
	s_mov_b32 s75, 0
	s_mov_b32 s76, 0
	v_cmp_gt_f32_e64 s74, |v1|, v30
	v_mov_b32_e32 v1, 0
	v_bfrev_b32_e32 v15, -2
	s_and_saveexec_b32 s9, s7
	s_cbranch_execz .LBB1_68
.LBB1_65:                               ;   in Loop: Header=BB1_21 Depth=2
	v_mov_b32_e32 v14, v4
	v_mov_b32_e32 v1, 0
	v_bfrev_b32_e32 v15, -2
	v_mov_b32_e32 v13, v3
	v_mov_b32_e32 v16, v0
	s_mov_b32 s26, 0
	.p2align	6
.LBB1_66:                               ;   Parent Loop BB1_12 Depth=1
                                        ;     Parent Loop BB1_21 Depth=2
                                        ; =>    This Inner Loop Header: Depth=3
	global_load_dword v17, v[13:14], off
	v_cmp_eq_u32_e32 vcc_lo, 0x7fffffff, v15
	v_add_nc_u32_e32 v18, 1, v16
	v_add_nc_u32_e32 v16, 0x100, v16
	v_add_co_u32 v13, s8, 0x400, v13
	v_add_co_ci_u32_e64 v14, null, 0, v14, s8
	v_cmp_le_u32_e64 s8, s53, v16
	s_waitcnt vmcnt(0)
	v_cmp_lt_f32_e64 s70, v1, |v17|
	s_or_b32 vcc_lo, s70, vcc_lo
	s_or_b32 s26, s8, s26
	v_cndmask_b32_e64 v1, v1, |v17|, vcc_lo
	v_cndmask_b32_e32 v15, v15, v18, vcc_lo
	s_andn2_b32 exec_lo, exec_lo, s26
	s_cbranch_execnz .LBB1_66
; %bb.67:                               ;   in Loop: Header=BB1_21 Depth=2
	s_or_b32 exec_lo, exec_lo, s26
.LBB1_68:                               ;   Parent Loop BB1_12 Depth=1
                                        ;     Parent Loop BB1_21 Depth=2
                                        ; =>    This Loop Header: Depth=3
                                        ;         Child Loop BB1_105 Depth 4
                                        ;         Child Loop BB1_108 Depth 4
	;; [unrolled: 1-line block ×4, first 2 shown]
                                        ;           Child Loop BB1_124 Depth 5
                                        ;         Child Loop BB1_138 Depth 4
                                        ;           Child Loop BB1_139 Depth 5
                                        ;           Child Loop BB1_141 Depth 5
                                        ;         Child Loop BB1_146 Depth 4
	s_or_b32 exec_lo, exec_lo, s9
	ds_write2st64_b32 v22, v1, v15 offset1:8
	s_waitcnt lgkmcnt(0)
	s_waitcnt_vscnt null, 0x0
	s_barrier
	buffer_gl0_inv
	s_and_saveexec_b32 s9, s1
	s_cbranch_execz .LBB1_74
; %bb.69:                               ;   in Loop: Header=BB1_68 Depth=3
	ds_read2st64_b32 v[13:14], v22 offset0:2 offset1:10
	s_mov_b32 s70, exec_lo
	s_waitcnt lgkmcnt(0)
	v_cmp_lt_f32_e64 s26, v1, v13
	v_cmpx_nlt_f32_e32 v1, v13
; %bb.70:                               ;   in Loop: Header=BB1_68 Depth=3
	v_cmp_eq_f32_e32 vcc_lo, v1, v13
	v_cmp_gt_i32_e64 s8, v15, v14
	s_andn2_b32 s26, s26, exec_lo
	s_and_b32 s8, vcc_lo, s8
	s_and_b32 s8, s8, exec_lo
	s_or_b32 s26, s26, s8
; %bb.71:                               ;   in Loop: Header=BB1_68 Depth=3
	s_or_b32 exec_lo, exec_lo, s70
	s_and_saveexec_b32 s8, s26
; %bb.72:                               ;   in Loop: Header=BB1_68 Depth=3
	v_mov_b32_e32 v15, v14
	v_mov_b32_e32 v1, v13
	ds_write2st64_b32 v22, v13, v14 offset1:8
; %bb.73:                               ;   in Loop: Header=BB1_68 Depth=3
	s_or_b32 exec_lo, exec_lo, s8
.LBB1_74:                               ;   in Loop: Header=BB1_68 Depth=3
	s_or_b32 exec_lo, exec_lo, s9
	s_waitcnt lgkmcnt(0)
	s_barrier
	buffer_gl0_inv
	s_and_saveexec_b32 s9, s2
	s_cbranch_execz .LBB1_80
; %bb.75:                               ;   in Loop: Header=BB1_68 Depth=3
	ds_read2st64_b32 v[13:14], v22 offset0:1 offset1:9
	s_mov_b32 s70, exec_lo
	s_waitcnt lgkmcnt(0)
	v_cmp_lt_f32_e64 s26, v1, v13
	v_cmpx_nlt_f32_e32 v1, v13
; %bb.76:                               ;   in Loop: Header=BB1_68 Depth=3
	v_cmp_eq_f32_e32 vcc_lo, v1, v13
	v_cmp_gt_i32_e64 s8, v15, v14
	s_andn2_b32 s26, s26, exec_lo
	s_and_b32 s8, vcc_lo, s8
	s_and_b32 s8, s8, exec_lo
	s_or_b32 s26, s26, s8
; %bb.77:                               ;   in Loop: Header=BB1_68 Depth=3
	s_or_b32 exec_lo, exec_lo, s70
	s_and_saveexec_b32 s8, s26
; %bb.78:                               ;   in Loop: Header=BB1_68 Depth=3
	v_mov_b32_e32 v15, v14
	v_mov_b32_e32 v1, v13
	ds_write2st64_b32 v22, v13, v14 offset1:8
; %bb.79:                               ;   in Loop: Header=BB1_68 Depth=3
	s_or_b32 exec_lo, exec_lo, s8
.LBB1_80:                               ;   in Loop: Header=BB1_68 Depth=3
	s_or_b32 exec_lo, exec_lo, s9
	s_waitcnt lgkmcnt(0)
	s_barrier
	buffer_gl0_inv
	s_and_saveexec_b32 s26, s3
	s_cbranch_execz .LBB1_103
; %bb.81:                               ;   in Loop: Header=BB1_68 Depth=3
	v_add_nc_u32_e32 v13, 0x80, v22
	s_mov_b32 s70, exec_lo
	ds_read2st64_b32 v[13:14], v13 offset1:8
	s_waitcnt lgkmcnt(0)
	v_cmp_lt_f32_e64 s9, v1, v13
	v_cmpx_nlt_f32_e32 v1, v13
; %bb.82:                               ;   in Loop: Header=BB1_68 Depth=3
	v_cmp_eq_f32_e32 vcc_lo, v1, v13
	v_cmp_gt_i32_e64 s8, v15, v14
	s_andn2_b32 s9, s9, exec_lo
	s_and_b32 s8, vcc_lo, s8
	s_and_b32 s8, s8, exec_lo
	s_or_b32 s9, s9, s8
; %bb.83:                               ;   in Loop: Header=BB1_68 Depth=3
	s_or_b32 exec_lo, exec_lo, s70
	s_and_saveexec_b32 s8, s9
; %bb.84:                               ;   in Loop: Header=BB1_68 Depth=3
	v_mov_b32_e32 v1, v13
	v_mov_b32_e32 v15, v14
	ds_write2st64_b32 v22, v13, v14 offset1:8
; %bb.85:                               ;   in Loop: Header=BB1_68 Depth=3
	s_or_b32 exec_lo, exec_lo, s8
	v_add_nc_u32_e32 v13, 64, v22
	s_mov_b32 s70, exec_lo
	ds_read2st64_b32 v[13:14], v13 offset1:8
	s_waitcnt lgkmcnt(0)
	v_cmp_lt_f32_e64 s9, v1, v13
	v_cmpx_nlt_f32_e32 v1, v13
; %bb.86:                               ;   in Loop: Header=BB1_68 Depth=3
	v_cmp_eq_f32_e32 vcc_lo, v1, v13
	v_cmp_gt_i32_e64 s8, v15, v14
	s_andn2_b32 s9, s9, exec_lo
	s_and_b32 s8, vcc_lo, s8
	s_and_b32 s8, s8, exec_lo
	s_or_b32 s9, s9, s8
; %bb.87:                               ;   in Loop: Header=BB1_68 Depth=3
	s_or_b32 exec_lo, exec_lo, s70
	s_and_saveexec_b32 s8, s9
; %bb.88:                               ;   in Loop: Header=BB1_68 Depth=3
	v_mov_b32_e32 v1, v13
	v_mov_b32_e32 v15, v14
	ds_write2st64_b32 v22, v13, v14 offset1:8
; %bb.89:                               ;   in Loop: Header=BB1_68 Depth=3
	s_or_b32 exec_lo, exec_lo, s8
	;; [unrolled: 22-line block ×4, first 2 shown]
	v_add_nc_u32_e32 v13, 8, v22
	s_mov_b32 s70, exec_lo
	ds_read2st64_b32 v[13:14], v13 offset1:8
	s_waitcnt lgkmcnt(0)
	v_cmp_lt_f32_e64 s9, v1, v13
	v_cmpx_nlt_f32_e32 v1, v13
; %bb.98:                               ;   in Loop: Header=BB1_68 Depth=3
	v_cmp_eq_f32_e32 vcc_lo, v1, v13
	v_cmp_gt_i32_e64 s8, v15, v14
	s_andn2_b32 s9, s9, exec_lo
	s_and_b32 s8, vcc_lo, s8
	s_and_b32 s8, s8, exec_lo
	s_or_b32 s9, s9, s8
; %bb.99:                               ;   in Loop: Header=BB1_68 Depth=3
	s_or_b32 exec_lo, exec_lo, s70
	s_and_saveexec_b32 s8, s9
; %bb.100:                              ;   in Loop: Header=BB1_68 Depth=3
	v_mov_b32_e32 v1, v13
	v_mov_b32_e32 v15, v14
	ds_write2st64_b32 v22, v13, v14 offset1:8
; %bb.101:                              ;   in Loop: Header=BB1_68 Depth=3
	s_or_b32 exec_lo, exec_lo, s8
	v_add_nc_u32_e32 v13, 4, v22
	ds_read2st64_b32 v[13:14], v13 offset1:8
	s_waitcnt lgkmcnt(0)
	v_cmp_eq_f32_e32 vcc_lo, v1, v13
	v_cmp_gt_i32_e64 s8, v15, v14
	v_cmp_lt_f32_e64 s9, v1, v13
	s_and_b32 s8, vcc_lo, s8
	s_or_b32 s8, s9, s8
	s_and_b32 exec_lo, exec_lo, s8
; %bb.102:                              ;   in Loop: Header=BB1_68 Depth=3
	ds_write2st64_b32 v22, v13, v14 offset1:8
.LBB1_103:                              ;   in Loop: Header=BB1_68 Depth=3
	s_or_b32 exec_lo, exec_lo, s26
	s_waitcnt lgkmcnt(0)
	s_barrier
	buffer_gl0_inv
	s_and_saveexec_b32 s9, s5
	s_cbranch_execz .LBB1_106
; %bb.104:                              ;   in Loop: Header=BB1_68 Depth=3
	global_load_dword v1, v2, s[62:63]
	ds_read_b32 v15, v26
	s_mov_b32 s26, 0
	s_waitcnt vmcnt(0)
	v_cmp_lt_f32_e64 s8, s14, |v1|
	v_cndmask_b32_e64 v1, s14, |v1|, s8
	v_mul_f32_e32 v1, v31, v1
	s_waitcnt lgkmcnt(0)
	v_div_scale_f32 v13, null, v15, v15, v1
	v_div_scale_f32 v17, vcc_lo, v1, v15, v1
	v_rcp_f32_e32 v14, v13
	v_fma_f32 v16, -v13, v14, 1.0
	v_fmac_f32_e32 v14, v16, v14
	v_mul_f32_e32 v16, v17, v14
	v_fma_f32 v18, -v13, v16, v17
	v_fmac_f32_e32 v16, v18, v14
	v_fma_f32 v13, -v13, v16, v17
	v_div_fmas_f32 v16, v13, v14, v16
	v_mov_b32_e32 v14, v4
	v_mov_b32_e32 v13, v3
	v_div_fixup_f32 v1, v16, v15, v1
	v_mov_b32_e32 v15, v0
.LBB1_105:                              ;   Parent Loop BB1_12 Depth=1
                                        ;     Parent Loop BB1_21 Depth=2
                                        ;       Parent Loop BB1_68 Depth=3
                                        ; =>      This Inner Loop Header: Depth=4
	global_load_dword v16, v[13:14], off
	v_add_nc_u32_e32 v15, 0x100, v15
	v_cmp_lt_i32_e32 vcc_lo, s58, v15
	s_or_b32 s26, vcc_lo, s26
	s_waitcnt vmcnt(0)
	v_mul_f32_e32 v16, v1, v16
	global_store_dword v[13:14], v16, off
	v_add_co_u32 v13, s8, 0x400, v13
	v_add_co_ci_u32_e64 v14, null, 0, v14, s8
	s_andn2_b32 exec_lo, exec_lo, s26
	s_cbranch_execnz .LBB1_105
.LBB1_106:                              ;   in Loop: Header=BB1_68 Depth=3
	s_or_b32 exec_lo, exec_lo, s9
	s_waitcnt_vscnt null, 0x0
	s_barrier
	buffer_gl0_inv
	s_and_saveexec_b32 s77, s0
	s_cbranch_execz .LBB1_134
; %bb.107:                              ;   in Loop: Header=BB1_68 Depth=3
	s_clause 0x1
	global_load_dwordx2 v[13:14], v2, s[24:25]
	global_load_dword v1, v2, s[36:37] offset:4
	s_andn2_b32 vcc_lo, exec_lo, s95
	s_mov_b64 s[8:9], s[40:41]
	s_mov_b64 s[70:71], s[42:43]
	s_mov_b32 s26, s59
	s_waitcnt vmcnt(0)
	v_max3_f32 v1, |v13|, |v14|, |v1|
	s_cbranch_vccnz .LBB1_109
	.p2align	6
.LBB1_108:                              ;   Parent Loop BB1_12 Depth=1
                                        ;     Parent Loop BB1_21 Depth=2
                                        ;       Parent Loop BB1_68 Depth=3
                                        ; =>      This Inner Loop Header: Depth=4
	s_add_u32 s72, s70, s21
	s_addc_u32 s73, s71, s87
	s_clause 0x2
	global_load_dword v13, v2, s[70:71]
	global_load_dword v14, v2, s[8:9]
	;; [unrolled: 1-line block ×3, first 2 shown]
	s_add_i32 s26, s26, -1
	s_add_u32 s70, s70, 4
	s_addc_u32 s71, s71, 0
	s_add_u32 s8, s8, 4
	s_addc_u32 s9, s9, 0
	s_cmp_lg_u32 s26, 0
	s_waitcnt vmcnt(1)
	v_max_f32_e64 v14, |v14|, |v14|
	s_waitcnt vmcnt(0)
	v_max_f32_e64 v15, |v15|, |v15|
	v_max_f32_e32 v14, v15, v14
	v_max3_f32 v1, v1, |v13|, v14
	s_cbranch_scc1 .LBB1_108
.LBB1_109:                              ;   in Loop: Header=BB1_68 Depth=3
	s_mov_b32 s26, s58
	s_mov_b64 s[8:9], s[18:19]
	s_mov_b64 s[70:71], s[38:39]
	;; [unrolled: 1-line block ×3, first 2 shown]
	s_inst_prefetch 0x1
	s_branch .LBB1_111
	.p2align	6
.LBB1_110:                              ;   in Loop: Header=BB1_111 Depth=4
	s_add_u32 s72, s72, 4
	s_addc_u32 s73, s73, 0
	s_add_u32 s70, s70, 4
	s_addc_u32 s71, s71, 0
	;; [unrolled: 2-line block ×3, first 2 shown]
	s_add_i32 s26, s26, -1
	s_cmp_lg_u32 s26, 0
	s_cbranch_scc0 .LBB1_115
.LBB1_111:                              ;   Parent Loop BB1_12 Depth=1
                                        ;     Parent Loop BB1_21 Depth=2
                                        ;       Parent Loop BB1_68 Depth=3
                                        ; =>      This Inner Loop Header: Depth=4
	global_load_dword v13, v2, s[8:9]
	s_waitcnt vmcnt(0)
	v_cmp_ne_u32_e32 vcc_lo, 0, v13
	s_cbranch_vccz .LBB1_113
; %bb.112:                              ;   in Loop: Header=BB1_111 Depth=4
	global_load_dwordx2 v[13:14], v2, s[72:73] offset:-4
	s_waitcnt vmcnt(0)
	global_store_dword v2, v14, s[72:73] offset:-4
	global_load_dword v15, v2, s[70:71]
	s_waitcnt vmcnt(0)
	v_fma_f32 v13, -v14, v15, v13
	global_store_dword v2, v13, s[72:73]
	s_cbranch_execnz .LBB1_110
	s_branch .LBB1_114
	.p2align	6
.LBB1_113:                              ;   in Loop: Header=BB1_111 Depth=4
.LBB1_114:                              ;   in Loop: Header=BB1_111 Depth=4
	s_clause 0x1
	global_load_dwordx2 v[13:14], v2, s[72:73] offset:-4
	global_load_dword v15, v2, s[70:71]
	s_waitcnt vmcnt(0)
	v_fma_f32 v13, -v15, v13, v14
	global_store_dword v2, v13, s[72:73]
	s_branch .LBB1_110
.LBB1_115:                              ;   in Loop: Header=BB1_68 Depth=3
	s_inst_prefetch 0x2
	v_mul_f32_e32 v1, s14, v1
	s_mov_b32 s26, s58
	v_cmp_eq_f32_e32 vcc_lo, 0, v1
	v_cndmask_b32_e64 v1, v1, s14, vcc_lo
	v_and_b32_e32 v13, 0x7fffffff, v1
	s_branch .LBB1_118
.LBB1_116:                              ;   in Loop: Header=BB1_118 Depth=4
	v_mov_b32_e32 v15, v19
.LBB1_117:                              ;   in Loop: Header=BB1_118 Depth=4
	v_div_scale_f32 v16, null, v15, v15, v14
	s_add_i32 s8, s26, -1
	s_cmp_gt_i32 s26, 0
	s_mov_b32 s26, s8
	v_rcp_f32_e32 v17, v16
	v_fma_f32 v18, -v16, v17, 1.0
	v_fmac_f32_e32 v17, v18, v17
	v_div_scale_f32 v18, vcc_lo, v14, v15, v14
	v_mul_f32_e32 v19, v18, v17
	v_fma_f32 v20, -v16, v19, v18
	v_fmac_f32_e32 v19, v20, v17
	v_fma_f32 v16, -v16, v19, v18
	v_div_fmas_f32 v16, v16, v17, v19
	v_div_fixup_f32 v14, v16, v15, v14
	global_store_dword v2, v14, s[70:71]
	s_cbranch_scc0 .LBB1_134
.LBB1_118:                              ;   Parent Loop BB1_12 Depth=1
                                        ;     Parent Loop BB1_21 Depth=2
                                        ;       Parent Loop BB1_68 Depth=3
                                        ; =>      This Loop Header: Depth=4
                                        ;           Child Loop BB1_124 Depth 5
	s_lshl_b64 s[8:9], s[26:27], 2
	s_add_u32 s70, s12, s8
	s_addc_u32 s71, s13, s9
	s_cmp_ge_i32 s26, s58
	global_load_dword v14, v2, s[70:71]
	s_cbranch_scc1 .LBB1_120
; %bb.119:                              ;   in Loop: Header=BB1_118 Depth=4
	s_add_u32 s72, s36, s8
	s_addc_u32 s73, s37, s9
	s_clause 0x1
	global_load_dword v15, v2, s[72:73] offset:4
	global_load_dword v16, v2, s[70:71] offset:4
	s_waitcnt vmcnt(0)
	v_fma_f32 v14, -v15, v16, v14
.LBB1_120:                              ;   in Loop: Header=BB1_118 Depth=4
	s_cmp_ge_i32 s26, s59
	s_cbranch_scc1 .LBB1_122
; %bb.121:                              ;   in Loop: Header=BB1_118 Depth=4
	s_add_u32 s72, s40, s8
	s_addc_u32 s73, s41, s9
	s_clause 0x1
	global_load_dword v15, v2, s[72:73]
	global_load_dword v16, v2, s[70:71] offset:8
	s_waitcnt vmcnt(0)
	v_fma_f32 v14, -v15, v16, v14
.LBB1_122:                              ;   in Loop: Header=BB1_118 Depth=4
	s_add_u32 s8, s24, s8
	s_addc_u32 s9, s25, s9
	global_load_dword v15, v2, s[8:9]
	s_waitcnt vmcnt(0)
	v_cmp_nlt_f32_e64 s8, |v15|, 1.0
	s_and_b32 vcc_lo, exec_lo, s8
	s_cbranch_vccnz .LBB1_117
; %bb.123:                              ;   in Loop: Header=BB1_118 Depth=4
	v_cmp_nle_f32_e32 vcc_lo, 0, v15
	v_and_b32_e32 v18, 0x7fffffff, v15
	v_mul_f32_e64 v16, s15, |v14|
	v_cndmask_b32_e64 v17, |v1|, -v13, vcc_lo
	.p2align	6
.LBB1_124:                              ;   Parent Loop BB1_12 Depth=1
                                        ;     Parent Loop BB1_21 Depth=2
                                        ;       Parent Loop BB1_68 Depth=3
                                        ;         Parent Loop BB1_118 Depth=4
                                        ; =>        This Inner Loop Header: Depth=5
	v_cmp_ngt_f32_e32 vcc_lo, s15, v18
	s_mov_b32 s8, -1
	s_mov_b32 s9, 0
	s_mov_b32 s72, -1
	s_cbranch_vccnz .LBB1_128
; %bb.125:                              ;   in Loop: Header=BB1_124 Depth=5
	s_andn2_b32 vcc_lo, exec_lo, s72
	s_cbranch_vccz .LBB1_129
.LBB1_126:                              ;   in Loop: Header=BB1_124 Depth=5
	s_andn2_b32 vcc_lo, exec_lo, s9
	s_cbranch_vccnz .LBB1_130
.LBB1_127:                              ;   in Loop: Header=BB1_124 Depth=5
	v_add_f32_e32 v19, v15, v17
	v_add_f32_e32 v17, v17, v17
	s_mov_b32 s8, -1
	v_and_b32_e32 v18, 0x7fffffff, v19
	v_cmp_nlt_f32_e64 s9, |v19|, 1.0
	s_andn2_b32 vcc_lo, exec_lo, s9
	s_cbranch_vccnz .LBB1_131
	s_branch .LBB1_132
	.p2align	6
.LBB1_128:                              ;   in Loop: Header=BB1_124 Depth=5
	v_mul_f32_e32 v19, v23, v18
	v_cmp_gt_f32_e64 s9, |v14|, v19
	s_cbranch_execnz .LBB1_126
.LBB1_129:                              ;   in Loop: Header=BB1_124 Depth=5
	v_cmp_eq_f32_e32 vcc_lo, 0, v15
	v_cmp_gt_f32_e64 s8, v16, v18
	s_or_b32 s9, vcc_lo, s8
	s_mov_b32 s8, 0
	s_andn2_b32 vcc_lo, exec_lo, s9
	s_cbranch_vccz .LBB1_127
.LBB1_130:                              ;   in Loop: Header=BB1_118 Depth=4
	v_mov_b32_e32 v19, v15
                                        ; implicit-def: $vgpr17
                                        ; implicit-def: $vgpr18
	s_branch .LBB1_132
.LBB1_131:                              ;   in Loop: Header=BB1_124 Depth=5
	v_mov_b32_e32 v15, v19
	s_branch .LBB1_124
.LBB1_132:                              ;   in Loop: Header=BB1_118 Depth=4
	s_andn2_b32 vcc_lo, exec_lo, s8
	s_cbranch_vccz .LBB1_116
; %bb.133:                              ;   in Loop: Header=BB1_118 Depth=4
	v_mul_f32_e32 v14, v23, v14
	v_mul_f32_e32 v19, v23, v15
	s_branch .LBB1_116
.LBB1_134:                              ;   in Loop: Header=BB1_68 Depth=3
	s_or_b32 exec_lo, exec_lo, s77
	s_andn2_b32 vcc_lo, exec_lo, s69
	s_waitcnt_vscnt null, 0x0
	s_barrier
	buffer_gl0_inv
	s_cbranch_vccnz .LBB1_144
; %bb.135:                              ;   in Loop: Header=BB1_68 Depth=3
	s_and_b32 s8, s74, exec_lo
	s_cselect_b32 s26, s68, s55
	s_mov_b32 s55, s68
	s_cmp_eq_u32 s26, s68
	s_cbranch_scc1 .LBB1_144
; %bb.136:                              ;   in Loop: Header=BB1_68 Depth=3
	s_cmp_lt_i32 s26, s68
	s_cselect_b32 s8, -1, 0
	s_and_b32 s8, s0, s8
	s_and_saveexec_b32 s55, s8
	s_cbranch_execz .LBB1_143
; %bb.137:                              ;   in Loop: Header=BB1_68 Depth=3
	s_mul_i32 s8, s11, s26
	s_mov_b32 s73, s26
	s_add_i32 s72, s54, s8
	s_inst_prefetch 0x1
	.p2align	6
.LBB1_138:                              ;   Parent Loop BB1_12 Depth=1
                                        ;     Parent Loop BB1_21 Depth=2
                                        ;       Parent Loop BB1_68 Depth=3
                                        ; =>      This Loop Header: Depth=4
                                        ;           Child Loop BB1_139 Depth 5
                                        ;           Child Loop BB1_141 Depth 5
	v_mov_b32_e32 v1, 0
	s_mov_b64 s[8:9], s[12:13]
	s_mov_b32 s70, s72
	s_mov_b32 s77, s53
.LBB1_139:                              ;   Parent Loop BB1_12 Depth=1
                                        ;     Parent Loop BB1_21 Depth=2
                                        ;       Parent Loop BB1_68 Depth=3
                                        ;         Parent Loop BB1_138 Depth=4
                                        ; =>        This Inner Loop Header: Depth=5
	s_ashr_i32 s71, s70, 31
	s_lshl_b64 vcc, s[70:71], 2
	s_add_u32 vcc_lo, s10, vcc_lo
	s_addc_u32 vcc_hi, s86, vcc_hi
	s_clause 0x1
	global_load_dword v13, v2, s[8:9]
	global_load_dword v14, v2, vcc
	s_add_i32 s77, s77, -1
	s_add_i32 s70, s70, 1
	s_add_u32 s8, s8, 4
	s_addc_u32 s9, s9, 0
	s_cmp_lg_u32 s77, 0
	s_waitcnt vmcnt(0)
	v_fmac_f32_e32 v1, v13, v14
	s_cbranch_scc1 .LBB1_139
; %bb.140:                              ;   in Loop: Header=BB1_138 Depth=4
	s_mov_b32 s70, 0
	s_mov_b64 s[8:9], s[12:13]
	.p2align	6
.LBB1_141:                              ;   Parent Loop BB1_12 Depth=1
                                        ;     Parent Loop BB1_21 Depth=2
                                        ;       Parent Loop BB1_68 Depth=3
                                        ;         Parent Loop BB1_138 Depth=4
                                        ; =>        This Inner Loop Header: Depth=5
	s_add_i32 vcc_lo, s72, s70
	global_load_dword v13, v2, s[8:9]
	s_ashr_i32 vcc_hi, vcc_lo, 31
	s_lshl_b64 vcc, vcc, 2
	s_add_u32 vcc_lo, s10, vcc_lo
	s_addc_u32 vcc_hi, s86, vcc_hi
	s_add_i32 s70, s70, 1
	global_load_dword v14, v2, vcc
	s_waitcnt vmcnt(0)
	v_fma_f32 v13, -v1, v14, v13
	global_store_dword v2, v13, s[8:9]
	s_add_u32 s8, s8, 4
	s_addc_u32 s9, s9, 0
	s_cmp_lg_u32 s53, s70
	s_cbranch_scc1 .LBB1_141
; %bb.142:                              ;   in Loop: Header=BB1_138 Depth=4
	s_add_i32 s73, s73, 1
	s_add_i32 s72, s72, s11
	s_cmp_lt_i32 s73, s68
	s_cbranch_scc1 .LBB1_138
.LBB1_143:                              ;   in Loop: Header=BB1_68 Depth=3
	s_inst_prefetch 0x2
	s_or_b32 exec_lo, exec_lo, s55
	s_mov_b32 s55, s26
	s_waitcnt_vscnt null, 0x0
	s_barrier
	buffer_gl0_inv
.LBB1_144:                              ;   in Loop: Header=BB1_68 Depth=3
	v_mov_b32_e32 v1, 0
	v_bfrev_b32_e32 v15, -2
	s_and_saveexec_b32 s9, s7
	s_cbranch_execz .LBB1_148
; %bb.145:                              ;   in Loop: Header=BB1_68 Depth=3
	v_mov_b32_e32 v14, v4
	v_mov_b32_e32 v1, 0
	v_bfrev_b32_e32 v15, -2
	v_mov_b32_e32 v13, v3
	v_mov_b32_e32 v16, v0
	s_mov_b32 s26, 0
	.p2align	6
.LBB1_146:                              ;   Parent Loop BB1_12 Depth=1
                                        ;     Parent Loop BB1_21 Depth=2
                                        ;       Parent Loop BB1_68 Depth=3
                                        ; =>      This Inner Loop Header: Depth=4
	global_load_dword v17, v[13:14], off
	v_cmp_eq_u32_e32 vcc_lo, 0x7fffffff, v15
	v_add_nc_u32_e32 v18, 1, v16
	v_add_nc_u32_e32 v16, 0x100, v16
	v_add_co_u32 v13, s8, 0x400, v13
	v_add_co_ci_u32_e64 v14, null, 0, v14, s8
	v_cmp_le_u32_e64 s8, s53, v16
	s_waitcnt vmcnt(0)
	v_cmp_lt_f32_e64 s70, v1, |v17|
	s_or_b32 vcc_lo, s70, vcc_lo
	s_or_b32 s26, s8, s26
	v_cndmask_b32_e64 v1, v1, |v17|, vcc_lo
	v_cndmask_b32_e32 v15, v15, v18, vcc_lo
	s_andn2_b32 exec_lo, exec_lo, s26
	s_cbranch_execnz .LBB1_146
; %bb.147:                              ;   in Loop: Header=BB1_68 Depth=3
	s_or_b32 exec_lo, exec_lo, s26
.LBB1_148:                              ;   in Loop: Header=BB1_68 Depth=3
	s_or_b32 exec_lo, exec_lo, s9
	ds_write2st64_b32 v22, v1, v15 offset1:8
	s_waitcnt lgkmcnt(0)
	s_barrier
	buffer_gl0_inv
	s_and_saveexec_b32 s9, s1
	s_cbranch_execz .LBB1_154
; %bb.149:                              ;   in Loop: Header=BB1_68 Depth=3
	ds_read2st64_b32 v[13:14], v22 offset0:2 offset1:10
	s_mov_b32 s70, exec_lo
	s_waitcnt lgkmcnt(0)
	v_cmp_lt_f32_e64 s26, v1, v13
	v_cmpx_nlt_f32_e32 v1, v13
; %bb.150:                              ;   in Loop: Header=BB1_68 Depth=3
	v_cmp_eq_f32_e32 vcc_lo, v1, v13
	v_cmp_gt_i32_e64 s8, v15, v14
	s_andn2_b32 s26, s26, exec_lo
	s_and_b32 s8, vcc_lo, s8
	s_and_b32 s8, s8, exec_lo
	s_or_b32 s26, s26, s8
; %bb.151:                              ;   in Loop: Header=BB1_68 Depth=3
	s_or_b32 exec_lo, exec_lo, s70
	s_and_saveexec_b32 s8, s26
; %bb.152:                              ;   in Loop: Header=BB1_68 Depth=3
	v_mov_b32_e32 v15, v14
	v_mov_b32_e32 v1, v13
	ds_write2st64_b32 v22, v13, v14 offset1:8
; %bb.153:                              ;   in Loop: Header=BB1_68 Depth=3
	s_or_b32 exec_lo, exec_lo, s8
.LBB1_154:                              ;   in Loop: Header=BB1_68 Depth=3
	s_or_b32 exec_lo, exec_lo, s9
	s_waitcnt lgkmcnt(0)
	s_barrier
	buffer_gl0_inv
	s_and_saveexec_b32 s9, s2
	s_cbranch_execz .LBB1_160
; %bb.155:                              ;   in Loop: Header=BB1_68 Depth=3
	ds_read2st64_b32 v[13:14], v22 offset0:1 offset1:9
	s_mov_b32 s70, exec_lo
	s_waitcnt lgkmcnt(0)
	v_cmp_lt_f32_e64 s26, v1, v13
	v_cmpx_nlt_f32_e32 v1, v13
; %bb.156:                              ;   in Loop: Header=BB1_68 Depth=3
	v_cmp_eq_f32_e32 vcc_lo, v1, v13
	v_cmp_gt_i32_e64 s8, v15, v14
	s_andn2_b32 s26, s26, exec_lo
	s_and_b32 s8, vcc_lo, s8
	s_and_b32 s8, s8, exec_lo
	s_or_b32 s26, s26, s8
; %bb.157:                              ;   in Loop: Header=BB1_68 Depth=3
	s_or_b32 exec_lo, exec_lo, s70
	s_and_saveexec_b32 s8, s26
; %bb.158:                              ;   in Loop: Header=BB1_68 Depth=3
	v_mov_b32_e32 v15, v14
	v_mov_b32_e32 v1, v13
	ds_write2st64_b32 v22, v13, v14 offset1:8
; %bb.159:                              ;   in Loop: Header=BB1_68 Depth=3
	s_or_b32 exec_lo, exec_lo, s8
.LBB1_160:                              ;   in Loop: Header=BB1_68 Depth=3
	s_or_b32 exec_lo, exec_lo, s9
	s_waitcnt lgkmcnt(0)
	s_barrier
	buffer_gl0_inv
	s_and_saveexec_b32 s26, s3
	s_cbranch_execz .LBB1_183
; %bb.161:                              ;   in Loop: Header=BB1_68 Depth=3
	v_add_nc_u32_e32 v13, 0x80, v22
	s_mov_b32 s70, exec_lo
	ds_read2st64_b32 v[13:14], v13 offset1:8
	s_waitcnt lgkmcnt(0)
	v_cmp_lt_f32_e64 s9, v1, v13
	v_cmpx_nlt_f32_e32 v1, v13
; %bb.162:                              ;   in Loop: Header=BB1_68 Depth=3
	v_cmp_eq_f32_e32 vcc_lo, v1, v13
	v_cmp_gt_i32_e64 s8, v15, v14
	s_andn2_b32 s9, s9, exec_lo
	s_and_b32 s8, vcc_lo, s8
	s_and_b32 s8, s8, exec_lo
	s_or_b32 s9, s9, s8
; %bb.163:                              ;   in Loop: Header=BB1_68 Depth=3
	s_or_b32 exec_lo, exec_lo, s70
	s_and_saveexec_b32 s8, s9
; %bb.164:                              ;   in Loop: Header=BB1_68 Depth=3
	v_mov_b32_e32 v1, v13
	v_mov_b32_e32 v15, v14
	ds_write2st64_b32 v22, v13, v14 offset1:8
; %bb.165:                              ;   in Loop: Header=BB1_68 Depth=3
	s_or_b32 exec_lo, exec_lo, s8
	v_add_nc_u32_e32 v13, 64, v22
	s_mov_b32 s70, exec_lo
	ds_read2st64_b32 v[13:14], v13 offset1:8
	s_waitcnt lgkmcnt(0)
	v_cmp_lt_f32_e64 s9, v1, v13
	v_cmpx_nlt_f32_e32 v1, v13
; %bb.166:                              ;   in Loop: Header=BB1_68 Depth=3
	v_cmp_eq_f32_e32 vcc_lo, v1, v13
	v_cmp_gt_i32_e64 s8, v15, v14
	s_andn2_b32 s9, s9, exec_lo
	s_and_b32 s8, vcc_lo, s8
	s_and_b32 s8, s8, exec_lo
	s_or_b32 s9, s9, s8
; %bb.167:                              ;   in Loop: Header=BB1_68 Depth=3
	s_or_b32 exec_lo, exec_lo, s70
	s_and_saveexec_b32 s8, s9
; %bb.168:                              ;   in Loop: Header=BB1_68 Depth=3
	v_mov_b32_e32 v1, v13
	v_mov_b32_e32 v15, v14
	ds_write2st64_b32 v22, v13, v14 offset1:8
; %bb.169:                              ;   in Loop: Header=BB1_68 Depth=3
	s_or_b32 exec_lo, exec_lo, s8
	;; [unrolled: 22-line block ×5, first 2 shown]
	v_add_nc_u32_e32 v13, 4, v22
	ds_read2st64_b32 v[13:14], v13 offset1:8
	s_waitcnt lgkmcnt(0)
	v_cmp_eq_f32_e32 vcc_lo, v1, v13
	v_cmp_gt_i32_e64 s8, v15, v14
	v_cmp_lt_f32_e64 s9, v1, v13
	s_and_b32 s8, vcc_lo, s8
	s_or_b32 s8, s9, s8
	s_and_b32 exec_lo, exec_lo, s8
; %bb.182:                              ;   in Loop: Header=BB1_68 Depth=3
	ds_write2st64_b32 v22, v13, v14 offset1:8
.LBB1_183:                              ;   in Loop: Header=BB1_68 Depth=3
	s_or_b32 exec_lo, exec_lo, s26
	s_waitcnt lgkmcnt(0)
	s_barrier
	buffer_gl0_inv
	ds_read_b32 v1, v26
	s_add_i32 s8, s76, 1
	s_waitcnt lgkmcnt(0)
	v_cmp_ge_f32_e32 vcc_lo, v1, v29
	v_cndmask_b32_e64 v1, 0, 1, vcc_lo
	v_readfirstlane_b32 s9, v1
	s_add_i32 s75, s75, s9
	s_cmp_lt_u32 s76, 4
	s_cselect_b32 s26, -1, 0
	s_cmp_lt_u32 s75, 2
	s_cselect_b32 s9, -1, 0
	s_and_b32 s26, s26, s9
	s_and_b32 vcc_lo, exec_lo, s26
	s_cbranch_vccz .LBB1_185
; %bb.184:                              ;   in Loop: Header=BB1_68 Depth=3
	s_mov_b32 s76, s8
	v_mov_b32_e32 v1, 0
	v_bfrev_b32_e32 v15, -2
	s_and_saveexec_b32 s9, s7
	s_cbranch_execnz .LBB1_65
	s_branch .LBB1_68
.LBB1_185:                              ;   in Loop: Header=BB1_21 Depth=2
	s_and_b32 s9, s29, s9
	s_and_saveexec_b32 s8, s9
	s_cbranch_execz .LBB1_187
; %bb.186:                              ;   in Loop: Header=BB1_21 Depth=2
	ds_read_b32 v13, v2
	s_add_i32 s9, s68, 1
	v_mov_b32_e32 v1, s9
	s_waitcnt lgkmcnt(0)
	v_ashrrev_i32_e32 v14, 31, v13
	v_lshlrev_b64 v[14:15], 2, v[13:14]
	v_add_nc_u32_e32 v13, 1, v13
	ds_write_b32 v2, v13
	v_add_co_u32 v14, vcc_lo, s48, v14
	v_add_co_ci_u32_e64 v15, null, s49, v15, vcc_lo
	global_store_dword v[14:15], v1, off
.LBB1_187:                              ;   in Loop: Header=BB1_21 Depth=2
	s_or_b32 exec_lo, exec_lo, s8
	v_mov_b32_e32 v1, 0
	v_bfrev_b32_e32 v15, -2
	s_and_saveexec_b32 s9, s7
	s_cbranch_execz .LBB1_191
; %bb.188:                              ;   in Loop: Header=BB1_21 Depth=2
	v_mov_b32_e32 v14, v4
	v_mov_b32_e32 v1, 0
	v_bfrev_b32_e32 v15, -2
	v_mov_b32_e32 v13, v3
	v_mov_b32_e32 v16, v0
	s_mov_b32 s26, 0
	.p2align	6
.LBB1_189:                              ;   Parent Loop BB1_12 Depth=1
                                        ;     Parent Loop BB1_21 Depth=2
                                        ; =>    This Inner Loop Header: Depth=3
	global_load_dword v17, v[13:14], off
	v_cmp_eq_u32_e32 vcc_lo, 0x7fffffff, v15
	v_add_nc_u32_e32 v18, 1, v16
	v_add_nc_u32_e32 v16, 0x100, v16
	v_add_co_u32 v13, s8, 0x400, v13
	v_add_co_ci_u32_e64 v14, null, 0, v14, s8
	v_cmp_le_u32_e64 s8, s53, v16
	s_waitcnt vmcnt(0)
	v_cmp_lt_f32_e64 s69, v1, |v17|
	s_or_b32 vcc_lo, s69, vcc_lo
	s_or_b32 s26, s8, s26
	v_cndmask_b32_e64 v1, v1, |v17|, vcc_lo
	v_cndmask_b32_e32 v15, v15, v18, vcc_lo
	s_andn2_b32 exec_lo, exec_lo, s26
	s_cbranch_execnz .LBB1_189
; %bb.190:                              ;   in Loop: Header=BB1_21 Depth=2
	s_or_b32 exec_lo, exec_lo, s26
.LBB1_191:                              ;   in Loop: Header=BB1_21 Depth=2
	s_or_b32 exec_lo, exec_lo, s9
	ds_write2st64_b32 v22, v1, v15 offset1:8
	s_waitcnt lgkmcnt(0)
	s_waitcnt_vscnt null, 0x0
	s_barrier
	buffer_gl0_inv
	s_and_saveexec_b32 s9, s1
	s_cbranch_execz .LBB1_197
; %bb.192:                              ;   in Loop: Header=BB1_21 Depth=2
	ds_read2st64_b32 v[13:14], v22 offset0:2 offset1:10
	s_mov_b32 s69, exec_lo
	s_waitcnt lgkmcnt(0)
	v_cmp_lt_f32_e64 s26, v1, v13
	v_cmpx_nlt_f32_e32 v1, v13
; %bb.193:                              ;   in Loop: Header=BB1_21 Depth=2
	v_cmp_eq_f32_e32 vcc_lo, v1, v13
	v_cmp_gt_i32_e64 s8, v15, v14
	s_andn2_b32 s26, s26, exec_lo
	s_and_b32 s8, vcc_lo, s8
	s_and_b32 s8, s8, exec_lo
	s_or_b32 s26, s26, s8
; %bb.194:                              ;   in Loop: Header=BB1_21 Depth=2
	s_or_b32 exec_lo, exec_lo, s69
	s_and_saveexec_b32 s8, s26
; %bb.195:                              ;   in Loop: Header=BB1_21 Depth=2
	v_mov_b32_e32 v15, v14
	v_mov_b32_e32 v1, v13
	ds_write2st64_b32 v22, v13, v14 offset1:8
; %bb.196:                              ;   in Loop: Header=BB1_21 Depth=2
	s_or_b32 exec_lo, exec_lo, s8
.LBB1_197:                              ;   in Loop: Header=BB1_21 Depth=2
	s_or_b32 exec_lo, exec_lo, s9
	s_waitcnt lgkmcnt(0)
	s_barrier
	buffer_gl0_inv
	s_and_saveexec_b32 s9, s2
	s_cbranch_execz .LBB1_203
; %bb.198:                              ;   in Loop: Header=BB1_21 Depth=2
	ds_read2st64_b32 v[13:14], v22 offset0:1 offset1:9
	s_mov_b32 s69, exec_lo
	s_waitcnt lgkmcnt(0)
	v_cmp_lt_f32_e64 s26, v1, v13
	v_cmpx_nlt_f32_e32 v1, v13
; %bb.199:                              ;   in Loop: Header=BB1_21 Depth=2
	v_cmp_eq_f32_e32 vcc_lo, v1, v13
	v_cmp_gt_i32_e64 s8, v15, v14
	s_andn2_b32 s26, s26, exec_lo
	s_and_b32 s8, vcc_lo, s8
	s_and_b32 s8, s8, exec_lo
	s_or_b32 s26, s26, s8
; %bb.200:                              ;   in Loop: Header=BB1_21 Depth=2
	s_or_b32 exec_lo, exec_lo, s69
	s_and_saveexec_b32 s8, s26
; %bb.201:                              ;   in Loop: Header=BB1_21 Depth=2
	v_mov_b32_e32 v15, v14
	v_mov_b32_e32 v1, v13
	ds_write2st64_b32 v22, v13, v14 offset1:8
; %bb.202:                              ;   in Loop: Header=BB1_21 Depth=2
	s_or_b32 exec_lo, exec_lo, s8
.LBB1_203:                              ;   in Loop: Header=BB1_21 Depth=2
	s_or_b32 exec_lo, exec_lo, s9
	s_waitcnt lgkmcnt(0)
	s_barrier
	buffer_gl0_inv
	s_and_saveexec_b32 s26, s3
	s_cbranch_execz .LBB1_226
; %bb.204:                              ;   in Loop: Header=BB1_21 Depth=2
	v_add_nc_u32_e32 v13, 0x80, v22
	s_mov_b32 s69, exec_lo
	ds_read2st64_b32 v[13:14], v13 offset1:8
	s_waitcnt lgkmcnt(0)
	v_cmp_lt_f32_e64 s9, v1, v13
	v_cmpx_nlt_f32_e32 v1, v13
; %bb.205:                              ;   in Loop: Header=BB1_21 Depth=2
	v_cmp_eq_f32_e32 vcc_lo, v1, v13
	v_cmp_gt_i32_e64 s8, v15, v14
	s_andn2_b32 s9, s9, exec_lo
	s_and_b32 s8, vcc_lo, s8
	s_and_b32 s8, s8, exec_lo
	s_or_b32 s9, s9, s8
; %bb.206:                              ;   in Loop: Header=BB1_21 Depth=2
	s_or_b32 exec_lo, exec_lo, s69
	s_and_saveexec_b32 s8, s9
; %bb.207:                              ;   in Loop: Header=BB1_21 Depth=2
	v_mov_b32_e32 v1, v13
	v_mov_b32_e32 v15, v14
	ds_write2st64_b32 v22, v13, v14 offset1:8
; %bb.208:                              ;   in Loop: Header=BB1_21 Depth=2
	s_or_b32 exec_lo, exec_lo, s8
	v_add_nc_u32_e32 v13, 64, v22
	s_mov_b32 s69, exec_lo
	ds_read2st64_b32 v[13:14], v13 offset1:8
	s_waitcnt lgkmcnt(0)
	v_cmp_lt_f32_e64 s9, v1, v13
	v_cmpx_nlt_f32_e32 v1, v13
; %bb.209:                              ;   in Loop: Header=BB1_21 Depth=2
	v_cmp_eq_f32_e32 vcc_lo, v1, v13
	v_cmp_gt_i32_e64 s8, v15, v14
	s_andn2_b32 s9, s9, exec_lo
	s_and_b32 s8, vcc_lo, s8
	s_and_b32 s8, s8, exec_lo
	s_or_b32 s9, s9, s8
; %bb.210:                              ;   in Loop: Header=BB1_21 Depth=2
	s_or_b32 exec_lo, exec_lo, s69
	s_and_saveexec_b32 s8, s9
; %bb.211:                              ;   in Loop: Header=BB1_21 Depth=2
	v_mov_b32_e32 v1, v13
	v_mov_b32_e32 v15, v14
	ds_write2st64_b32 v22, v13, v14 offset1:8
; %bb.212:                              ;   in Loop: Header=BB1_21 Depth=2
	s_or_b32 exec_lo, exec_lo, s8
	v_add_nc_u32_e32 v13, 32, v22
	s_mov_b32 s69, exec_lo
	ds_read2st64_b32 v[13:14], v13 offset1:8
	s_waitcnt lgkmcnt(0)
	v_cmp_lt_f32_e64 s9, v1, v13
	v_cmpx_nlt_f32_e32 v1, v13
; %bb.213:                              ;   in Loop: Header=BB1_21 Depth=2
	v_cmp_eq_f32_e32 vcc_lo, v1, v13
	v_cmp_gt_i32_e64 s8, v15, v14
	s_andn2_b32 s9, s9, exec_lo
	s_and_b32 s8, vcc_lo, s8
	s_and_b32 s8, s8, exec_lo
	s_or_b32 s9, s9, s8
; %bb.214:                              ;   in Loop: Header=BB1_21 Depth=2
	s_or_b32 exec_lo, exec_lo, s69
	s_and_saveexec_b32 s8, s9
; %bb.215:                              ;   in Loop: Header=BB1_21 Depth=2
	v_mov_b32_e32 v1, v13
	v_mov_b32_e32 v15, v14
	ds_write2st64_b32 v22, v13, v14 offset1:8
; %bb.216:                              ;   in Loop: Header=BB1_21 Depth=2
	s_or_b32 exec_lo, exec_lo, s8
	v_add_nc_u32_e32 v13, 16, v22
	s_mov_b32 s69, exec_lo
	ds_read2st64_b32 v[13:14], v13 offset1:8
	s_waitcnt lgkmcnt(0)
	v_cmp_lt_f32_e64 s9, v1, v13
	v_cmpx_nlt_f32_e32 v1, v13
; %bb.217:                              ;   in Loop: Header=BB1_21 Depth=2
	v_cmp_eq_f32_e32 vcc_lo, v1, v13
	v_cmp_gt_i32_e64 s8, v15, v14
	s_andn2_b32 s9, s9, exec_lo
	s_and_b32 s8, vcc_lo, s8
	s_and_b32 s8, s8, exec_lo
	s_or_b32 s9, s9, s8
; %bb.218:                              ;   in Loop: Header=BB1_21 Depth=2
	s_or_b32 exec_lo, exec_lo, s69
	s_and_saveexec_b32 s8, s9
; %bb.219:                              ;   in Loop: Header=BB1_21 Depth=2
	v_mov_b32_e32 v1, v13
	v_mov_b32_e32 v15, v14
	ds_write2st64_b32 v22, v13, v14 offset1:8
; %bb.220:                              ;   in Loop: Header=BB1_21 Depth=2
	s_or_b32 exec_lo, exec_lo, s8
	v_add_nc_u32_e32 v13, 8, v22
	s_mov_b32 s69, exec_lo
	ds_read2st64_b32 v[13:14], v13 offset1:8
	s_waitcnt lgkmcnt(0)
	v_cmp_lt_f32_e64 s9, v1, v13
	v_cmpx_nlt_f32_e32 v1, v13
; %bb.221:                              ;   in Loop: Header=BB1_21 Depth=2
	v_cmp_eq_f32_e32 vcc_lo, v1, v13
	v_cmp_gt_i32_e64 s8, v15, v14
	s_andn2_b32 s9, s9, exec_lo
	s_and_b32 s8, vcc_lo, s8
	s_and_b32 s8, s8, exec_lo
	s_or_b32 s9, s9, s8
; %bb.222:                              ;   in Loop: Header=BB1_21 Depth=2
	s_or_b32 exec_lo, exec_lo, s69
	s_and_saveexec_b32 s8, s9
; %bb.223:                              ;   in Loop: Header=BB1_21 Depth=2
	v_mov_b32_e32 v1, v13
	v_mov_b32_e32 v15, v14
	ds_write2st64_b32 v22, v13, v14 offset1:8
; %bb.224:                              ;   in Loop: Header=BB1_21 Depth=2
	s_or_b32 exec_lo, exec_lo, s8
	v_add_nc_u32_e32 v13, 4, v22
	ds_read2st64_b32 v[13:14], v13 offset1:8
	s_waitcnt lgkmcnt(0)
	v_cmp_eq_f32_e32 vcc_lo, v1, v13
	v_cmp_gt_i32_e64 s8, v15, v14
	v_cmp_lt_f32_e64 s9, v1, v13
	s_and_b32 s8, vcc_lo, s8
	s_or_b32 s8, s9, s8
	s_and_b32 exec_lo, exec_lo, s8
; %bb.225:                              ;   in Loop: Header=BB1_21 Depth=2
	ds_write2st64_b32 v22, v13, v14 offset1:8
.LBB1_226:                              ;   in Loop: Header=BB1_21 Depth=2
	s_or_b32 exec_lo, exec_lo, s26
	v_mov_b32_e32 v1, 0
	s_and_saveexec_b32 s9, s7
	s_cbranch_execz .LBB1_230
; %bb.227:                              ;   in Loop: Header=BB1_21 Depth=2
	v_mov_b32_e32 v14, v4
	v_mov_b32_e32 v1, 0
	v_mov_b32_e32 v13, v3
	v_mov_b32_e32 v15, v0
	s_mov_b32 s26, 0
.LBB1_228:                              ;   Parent Loop BB1_12 Depth=1
                                        ;     Parent Loop BB1_21 Depth=2
                                        ; =>    This Inner Loop Header: Depth=3
	global_load_dword v16, v[13:14], off
	v_add_nc_u32_e32 v15, 0x100, v15
	v_add_co_u32 v13, vcc_lo, 0x400, v13
	v_add_co_ci_u32_e64 v14, null, 0, v14, vcc_lo
	v_cmp_le_u32_e64 s8, s53, v15
	s_or_b32 s26, s8, s26
	s_waitcnt vmcnt(0)
	v_fmac_f32_e32 v1, v16, v16
	s_andn2_b32 exec_lo, exec_lo, s26
	s_cbranch_execnz .LBB1_228
; %bb.229:                              ;   in Loop: Header=BB1_21 Depth=2
	s_or_b32 exec_lo, exec_lo, s26
.LBB1_230:                              ;   in Loop: Header=BB1_21 Depth=2
	s_or_b32 exec_lo, exec_lo, s9
	ds_write_b32 v22, v1 offset:1024
	s_waitcnt lgkmcnt(0)
	s_barrier
	buffer_gl0_inv
	s_and_saveexec_b32 s8, s1
	s_cbranch_execz .LBB1_232
; %bb.231:                              ;   in Loop: Header=BB1_21 Depth=2
	ds_read_b32 v13, v22 offset:1536
	s_waitcnt lgkmcnt(0)
	v_add_f32_e32 v1, v1, v13
.LBB1_232:                              ;   in Loop: Header=BB1_21 Depth=2
	s_or_b32 exec_lo, exec_lo, s8
	s_barrier
	buffer_gl0_inv
	s_and_saveexec_b32 s8, s1
; %bb.233:                              ;   in Loop: Header=BB1_21 Depth=2
	ds_write_b32 v22, v1 offset:1024
; %bb.234:                              ;   in Loop: Header=BB1_21 Depth=2
	s_or_b32 exec_lo, exec_lo, s8
	s_waitcnt lgkmcnt(0)
	s_barrier
	buffer_gl0_inv
	s_and_saveexec_b32 s8, s2
	s_cbranch_execz .LBB1_236
; %bb.235:                              ;   in Loop: Header=BB1_21 Depth=2
	ds_read_b32 v13, v22 offset:1280
	s_waitcnt lgkmcnt(0)
	v_add_f32_e32 v1, v1, v13
.LBB1_236:                              ;   in Loop: Header=BB1_21 Depth=2
	s_or_b32 exec_lo, exec_lo, s8
	s_barrier
	buffer_gl0_inv
	s_and_saveexec_b32 s8, s2
; %bb.237:                              ;   in Loop: Header=BB1_21 Depth=2
	ds_write_b32 v22, v1 offset:1024
; %bb.238:                              ;   in Loop: Header=BB1_21 Depth=2
	s_or_b32 exec_lo, exec_lo, s8
	s_waitcnt lgkmcnt(0)
	s_barrier
	buffer_gl0_inv
	s_and_saveexec_b32 s8, s3
	s_cbranch_execz .LBB1_240
; %bb.239:                              ;   in Loop: Header=BB1_21 Depth=2
	v_add_nc_u32_e32 v1, 0x400, v22
	ds_read2_b32 v[13:14], v1 offset1:32
	s_waitcnt lgkmcnt(0)
	v_add_f32_e32 v13, v13, v14
	ds_write_b32 v22, v13 offset:1024
	s_waitcnt lgkmcnt(0)
	buffer_gl1_inv
	buffer_gl0_inv
	ds_read2_b32 v[13:14], v1 offset1:16
	s_waitcnt lgkmcnt(0)
	v_add_f32_e32 v13, v13, v14
	ds_write_b32 v22, v13 offset:1024
	s_waitcnt lgkmcnt(0)
	buffer_gl1_inv
	buffer_gl0_inv
	;; [unrolled: 7-line block ×4, first 2 shown]
	ds_read2_b32 v[13:14], v1 offset1:2
	s_waitcnt lgkmcnt(0)
	v_add_f32_e32 v1, v13, v14
	v_add_nc_u32_e32 v13, 0x400, v22
	ds_write_b32 v22, v1 offset:1024
	s_waitcnt lgkmcnt(0)
	buffer_gl1_inv
	buffer_gl0_inv
	ds_read2_b32 v[13:14], v13 offset1:1
	s_waitcnt lgkmcnt(0)
	v_add_f32_e32 v1, v13, v14
	ds_write_b32 v22, v1 offset:1024
	s_waitcnt lgkmcnt(0)
	buffer_gl1_inv
	buffer_gl0_inv
.LBB1_240:                              ;   in Loop: Header=BB1_21 Depth=2
	s_or_b32 exec_lo, exec_lo, s8
	s_and_saveexec_b32 s9, s0
	s_cbranch_execz .LBB1_242
; %bb.241:                              ;   in Loop: Header=BB1_21 Depth=2
	ds_read_b32 v1, v26 offset:1024
	s_waitcnt lgkmcnt(0)
	v_mul_f32_e32 v13, 0x4f800000, v1
	v_cmp_gt_f32_e32 vcc_lo, 0xf800000, v1
	v_cndmask_b32_e32 v1, v1, v13, vcc_lo
	v_sqrt_f32_e32 v13, v1
	v_add_nc_u32_e32 v14, -1, v13
	v_add_nc_u32_e32 v15, 1, v13
	v_fma_f32 v16, -v14, v13, v1
	v_fma_f32 v17, -v15, v13, v1
	v_cmp_ge_f32_e64 s8, 0, v16
	v_cndmask_b32_e64 v13, v13, v14, s8
	v_cmp_lt_f32_e64 s8, 0, v17
	v_cndmask_b32_e64 v13, v13, v15, s8
	v_mul_f32_e32 v14, 0x37800000, v13
	v_cndmask_b32_e32 v13, v13, v14, vcc_lo
	v_cmp_class_f32_e64 vcc_lo, v1, 0x260
	v_cndmask_b32_e32 v1, v13, v1, vcc_lo
	ds_write_b32 v26, v1 offset:1024
.LBB1_242:                              ;   in Loop: Header=BB1_21 Depth=2
	s_or_b32 exec_lo, exec_lo, s9
	s_waitcnt lgkmcnt(0)
	s_barrier
	buffer_gl0_inv
	ds_read2st64_b32 v[13:14], v26 offset0:4 offset1:8
	s_waitcnt lgkmcnt(0)
	v_ashrrev_i32_e32 v15, 31, v14
	v_lshlrev_b64 v[14:15], 2, v[14:15]
	v_add_co_u32 v14, vcc_lo, s12, v14
	v_add_co_ci_u32_e64 v15, null, s13, v15, vcc_lo
	global_load_dword v1, v[14:15], off offset:-4
	s_waitcnt vmcnt(0)
	s_barrier
	buffer_gl0_inv
	s_and_saveexec_b32 s9, s5
	s_cbranch_execz .LBB1_245
; %bb.243:                              ;   in Loop: Header=BB1_21 Depth=2
	v_cmp_nle_f32_e32 vcc_lo, 0, v1
	s_mov_b32 s26, 0
	v_cndmask_b32_e64 v1, 1.0, -1.0, vcc_lo
	v_div_scale_f32 v14, null, v13, v13, v1
	v_div_scale_f32 v17, vcc_lo, v1, v13, v1
	v_rcp_f32_e32 v15, v14
	v_fma_f32 v16, -v14, v15, 1.0
	v_fmac_f32_e32 v15, v16, v15
	v_mul_f32_e32 v16, v17, v15
	v_fma_f32 v18, -v14, v16, v17
	v_fmac_f32_e32 v16, v18, v15
	v_fma_f32 v14, -v14, v16, v17
	v_div_fmas_f32 v16, v14, v15, v16
	v_mov_b32_e32 v15, v4
	v_mov_b32_e32 v14, v3
	v_div_fixup_f32 v1, v16, v13, v1
	v_mov_b32_e32 v13, v0
.LBB1_244:                              ;   Parent Loop BB1_12 Depth=1
                                        ;     Parent Loop BB1_21 Depth=2
                                        ; =>    This Inner Loop Header: Depth=3
	global_load_dword v16, v[14:15], off
	v_add_nc_u32_e32 v13, 0x100, v13
	v_cmp_lt_i32_e32 vcc_lo, s58, v13
	s_or_b32 s26, vcc_lo, s26
	s_waitcnt vmcnt(0)
	v_mul_f32_e32 v16, v1, v16
	global_store_dword v[14:15], v16, off
	v_add_co_u32 v14, s8, 0x400, v14
	v_add_co_ci_u32_e64 v15, null, 0, v15, s8
	s_andn2_b32 exec_lo, exec_lo, s26
	s_cbranch_execnz .LBB1_244
.LBB1_245:                              ;   in Loop: Header=BB1_21 Depth=2
	s_or_b32 exec_lo, exec_lo, s9
	s_waitcnt_vscnt null, 0x0
	s_barrier
	buffer_gl0_inv
	s_and_saveexec_b32 s9, s4
	s_cbranch_execz .LBB1_250
.LBB1_246:                              ;   in Loop: Header=BB1_21 Depth=2
	v_mov_b32_e32 v13, v0
	s_mov_b32 s26, 0
	s_inst_prefetch 0x1
	s_branch .LBB1_248
	.p2align	6
.LBB1_247:                              ;   in Loop: Header=BB1_248 Depth=3
	s_or_b32 exec_lo, exec_lo, s8
	v_add_nc_u32_e32 v14, s98, v13
	v_add_nc_u32_e32 v13, 0x100, v13
	v_ashrrev_i32_e32 v15, 31, v14
	v_cmp_le_i32_e32 vcc_lo, s28, v13
	v_lshlrev_b64 v[14:15], 2, v[14:15]
	s_or_b32 s26, vcc_lo, s26
	v_add_co_u32 v14, s8, s10, v14
	v_add_co_ci_u32_e64 v15, null, s86, v15, s8
	s_waitcnt vmcnt(0)
	global_store_dword v[14:15], v1, off
	s_andn2_b32 exec_lo, exec_lo, s26
	s_cbranch_execz .LBB1_250
.LBB1_248:                              ;   Parent Loop BB1_12 Depth=1
                                        ;     Parent Loop BB1_21 Depth=2
                                        ; =>    This Inner Loop Header: Depth=3
	v_cmp_le_i32_e32 vcc_lo, s54, v13
	v_cmp_gt_i32_e64 s8, s56, v13
	v_mov_b32_e32 v1, 0
	s_and_b32 s69, vcc_lo, s8
	s_and_saveexec_b32 s8, s69
	s_cbranch_execz .LBB1_247
; %bb.249:                              ;   in Loop: Header=BB1_248 Depth=3
	v_add_nc_u32_e32 v1, s96, v13
	v_lshlrev_b64 v[14:15], 2, v[1:2]
	v_add_co_u32 v14, vcc_lo, s12, v14
	v_add_co_ci_u32_e64 v15, null, s13, v15, vcc_lo
	global_load_dword v1, v[14:15], off
	s_branch .LBB1_247
.LBB1_250:                              ;   in Loop: Header=BB1_21 Depth=2
	s_inst_prefetch 0x2
	s_or_b32 exec_lo, exec_lo, s9
	s_add_i32 s68, s68, 1
	s_add_i32 s97, s97, 1
	;; [unrolled: 1-line block ×3, first 2 shown]
	s_cmp_ge_i32 s68, s16
	s_waitcnt_vscnt null, 0x0
	s_barrier
	s_cselect_b32 s26, -1, 0
	s_mov_b32 s8, s93
	buffer_gl0_inv
	s_and_b32 vcc_lo, exec_lo, s26
	s_cbranch_vccnz .LBB1_10
.LBB1_251:                              ;   in Loop: Header=BB1_21 Depth=2
	v_mov_b32_e32 v1, v28
	s_branch .LBB1_21
.LBB1_252:
	s_and_saveexec_b32 s1, s0
	s_cbranch_execz .LBB1_254
; %bb.253:
	v_mov_b32_e32 v0, 0
	s_add_u32 s0, s30, s34
	s_addc_u32 s1, s31, s35
	ds_read_b32 v1, v0
	s_waitcnt lgkmcnt(0)
	global_store_dword v0, v1, s[0:1]
.LBB1_254:
	s_endpgm
	.section	.rodata,"a",@progbits
	.p2align	6, 0x0
	.amdhsa_kernel _ZN9rocsolver6v33100L12stein_kernelIffPfEEviPT0_lS4_lPiS4_lS5_lS5_lT1_iilS5_lS5_S4_S5_S3_S3_
		.amdhsa_group_segment_fixed_size 8
		.amdhsa_private_segment_fixed_size 0
		.amdhsa_kernarg_size 168
		.amdhsa_user_sgpr_count 6
		.amdhsa_user_sgpr_private_segment_buffer 1
		.amdhsa_user_sgpr_dispatch_ptr 0
		.amdhsa_user_sgpr_queue_ptr 0
		.amdhsa_user_sgpr_kernarg_segment_ptr 1
		.amdhsa_user_sgpr_dispatch_id 0
		.amdhsa_user_sgpr_flat_scratch_init 0
		.amdhsa_user_sgpr_private_segment_size 0
		.amdhsa_wavefront_size32 1
		.amdhsa_uses_dynamic_stack 0
		.amdhsa_system_sgpr_private_segment_wavefront_offset 0
		.amdhsa_system_sgpr_workgroup_id_x 1
		.amdhsa_system_sgpr_workgroup_id_y 1
		.amdhsa_system_sgpr_workgroup_id_z 0
		.amdhsa_system_sgpr_workgroup_info 0
		.amdhsa_system_vgpr_workitem_id 0
		.amdhsa_next_free_vgpr 40
		.amdhsa_next_free_sgpr 105
		.amdhsa_reserve_vcc 1
		.amdhsa_reserve_flat_scratch 0
		.amdhsa_float_round_mode_32 0
		.amdhsa_float_round_mode_16_64 0
		.amdhsa_float_denorm_mode_32 3
		.amdhsa_float_denorm_mode_16_64 3
		.amdhsa_dx10_clamp 1
		.amdhsa_ieee_mode 1
		.amdhsa_fp16_overflow 0
		.amdhsa_workgroup_processor_mode 1
		.amdhsa_memory_ordered 1
		.amdhsa_forward_progress 1
		.amdhsa_shared_vgpr_count 0
		.amdhsa_exception_fp_ieee_invalid_op 0
		.amdhsa_exception_fp_denorm_src 0
		.amdhsa_exception_fp_ieee_div_zero 0
		.amdhsa_exception_fp_ieee_overflow 0
		.amdhsa_exception_fp_ieee_underflow 0
		.amdhsa_exception_fp_ieee_inexact 0
		.amdhsa_exception_int_div_zero 0
	.end_amdhsa_kernel
	.section	.text._ZN9rocsolver6v33100L12stein_kernelIffPfEEviPT0_lS4_lPiS4_lS5_lS5_lT1_iilS5_lS5_S4_S5_S3_S3_,"axG",@progbits,_ZN9rocsolver6v33100L12stein_kernelIffPfEEviPT0_lS4_lPiS4_lS5_lS5_lT1_iilS5_lS5_S4_S5_S3_S3_,comdat
.Lfunc_end1:
	.size	_ZN9rocsolver6v33100L12stein_kernelIffPfEEviPT0_lS4_lPiS4_lS5_lS5_lT1_iilS5_lS5_S4_S5_S3_S3_, .Lfunc_end1-_ZN9rocsolver6v33100L12stein_kernelIffPfEEviPT0_lS4_lPiS4_lS5_lS5_lT1_iilS5_lS5_S4_S5_S3_S3_
                                        ; -- End function
	.set _ZN9rocsolver6v33100L12stein_kernelIffPfEEviPT0_lS4_lPiS4_lS5_lS5_lT1_iilS5_lS5_S4_S5_S3_S3_.num_vgpr, 40
	.set _ZN9rocsolver6v33100L12stein_kernelIffPfEEviPT0_lS4_lPiS4_lS5_lS5_lT1_iilS5_lS5_S4_S5_S3_S3_.num_agpr, 0
	.set _ZN9rocsolver6v33100L12stein_kernelIffPfEEviPT0_lS4_lPiS4_lS5_lS5_lT1_iilS5_lS5_S4_S5_S3_S3_.numbered_sgpr, 105
	.set _ZN9rocsolver6v33100L12stein_kernelIffPfEEviPT0_lS4_lPiS4_lS5_lS5_lT1_iilS5_lS5_S4_S5_S3_S3_.num_named_barrier, 0
	.set _ZN9rocsolver6v33100L12stein_kernelIffPfEEviPT0_lS4_lPiS4_lS5_lS5_lT1_iilS5_lS5_S4_S5_S3_S3_.private_seg_size, 0
	.set _ZN9rocsolver6v33100L12stein_kernelIffPfEEviPT0_lS4_lPiS4_lS5_lS5_lT1_iilS5_lS5_S4_S5_S3_S3_.uses_vcc, 1
	.set _ZN9rocsolver6v33100L12stein_kernelIffPfEEviPT0_lS4_lPiS4_lS5_lS5_lT1_iilS5_lS5_S4_S5_S3_S3_.uses_flat_scratch, 0
	.set _ZN9rocsolver6v33100L12stein_kernelIffPfEEviPT0_lS4_lPiS4_lS5_lS5_lT1_iilS5_lS5_S4_S5_S3_S3_.has_dyn_sized_stack, 0
	.set _ZN9rocsolver6v33100L12stein_kernelIffPfEEviPT0_lS4_lPiS4_lS5_lS5_lT1_iilS5_lS5_S4_S5_S3_S3_.has_recursion, 0
	.set _ZN9rocsolver6v33100L12stein_kernelIffPfEEviPT0_lS4_lPiS4_lS5_lS5_lT1_iilS5_lS5_S4_S5_S3_S3_.has_indirect_call, 0
	.section	.AMDGPU.csdata,"",@progbits
; Kernel info:
; codeLenInByte = 9720
; TotalNumSgprs: 107
; NumVgprs: 40
; ScratchSize: 0
; MemoryBound: 0
; FloatMode: 240
; IeeeMode: 1
; LDSByteSize: 8 bytes/workgroup (compile time only)
; SGPRBlocks: 0
; VGPRBlocks: 4
; NumSGPRsForWavesPerEU: 107
; NumVGPRsForWavesPerEU: 40
; Occupancy: 16
; WaveLimiterHint : 1
; COMPUTE_PGM_RSRC2:SCRATCH_EN: 0
; COMPUTE_PGM_RSRC2:USER_SGPR: 6
; COMPUTE_PGM_RSRC2:TRAP_HANDLER: 0
; COMPUTE_PGM_RSRC2:TGID_X_EN: 1
; COMPUTE_PGM_RSRC2:TGID_Y_EN: 1
; COMPUTE_PGM_RSRC2:TGID_Z_EN: 0
; COMPUTE_PGM_RSRC2:TIDIG_COMP_CNT: 0
	.section	.text._ZN9rocsolver6v33100L12stein_kernelIddPdEEviPT0_lS4_lPiS4_lS5_lS5_lT1_iilS5_lS5_S4_S5_S3_S3_,"axG",@progbits,_ZN9rocsolver6v33100L12stein_kernelIddPdEEviPT0_lS4_lPiS4_lS5_lS5_lT1_iilS5_lS5_S4_S5_S3_S3_,comdat
	.globl	_ZN9rocsolver6v33100L12stein_kernelIddPdEEviPT0_lS4_lPiS4_lS5_lS5_lT1_iilS5_lS5_S4_S5_S3_S3_ ; -- Begin function _ZN9rocsolver6v33100L12stein_kernelIddPdEEviPT0_lS4_lPiS4_lS5_lS5_lT1_iilS5_lS5_S4_S5_S3_S3_
	.p2align	8
	.type	_ZN9rocsolver6v33100L12stein_kernelIddPdEEviPT0_lS4_lPiS4_lS5_lS5_lT1_iilS5_lS5_S4_S5_S3_S3_,@function
_ZN9rocsolver6v33100L12stein_kernelIddPdEEviPT0_lS4_lPiS4_lS5_lS5_lT1_iilS5_lS5_S4_S5_S3_S3_: ; @_ZN9rocsolver6v33100L12stein_kernelIddPdEEviPT0_lS4_lPiS4_lS5_lS5_lT1_iilS5_lS5_S4_S5_S3_S3_
; %bb.0:
	s_load_dwordx16 s[36:51], s[4:5], 0x8
	s_mov_b32 s6, s7
	s_ashr_i32 s7, s7, 31
	s_lshl_b64 s[2:3], s[6:7], 2
	s_waitcnt lgkmcnt(0)
	s_add_u32 s0, s44, s2
	s_addc_u32 s1, s45, s3
	s_load_dword s44, s[0:1], 0x0
	s_waitcnt lgkmcnt(0)
	s_cmp_lt_i32 s44, 1
	s_cbranch_scc1 .LBB2_256
; %bb.1:
	s_load_dwordx16 s[8:23], s[4:5], 0x70
                                        ; implicit-def: $vgpr58 : SGPR spill to VGPR lane
	s_mov_b64 s[52:53], 0
	v_writelane_b32 v58, s2, 0
	v_writelane_b32 v58, s3, 1
	s_waitcnt lgkmcnt(0)
	s_cmp_eq_u64 s[10:11], 0
	s_cbranch_scc1 .LBB2_3
; %bb.2:
	s_mul_i32 s0, s12, s7
	s_mul_hi_u32 s1, s12, s6
	s_mul_i32 s2, s13, s6
	s_add_i32 s0, s1, s0
	s_add_i32 s1, s0, s2
	s_mul_i32 s0, s12, s6
	s_lshl_b64 s[0:1], s[0:1], 2
	s_add_u32 s52, s10, s0
	s_addc_u32 s53, s11, s1
.LBB2_3:
	v_cmp_eq_u32_e64 s0, 0, v0
	s_and_saveexec_b32 s1, s0
; %bb.4:
	v_mov_b32_e32 v1, 0
	ds_write_b32 v1, v1
; %bb.5:
	s_or_b32 exec_lo, exec_lo, s1
	v_cmp_gt_u32_e32 vcc_lo, s44, v0
	s_cmp_lg_u64 s[52:53], 0
	v_lshlrev_b32_e32 v45, 2, v0
	s_cselect_b32 s10, -1, 0
	s_and_b32 s1, vcc_lo, s10
	s_and_saveexec_b32 s2, s1
	s_cbranch_execz .LBB2_8
; %bb.6:
	v_add_co_u32 v1, s1, s52, v45
	v_mov_b32_e32 v3, 0
	v_add_co_ci_u32_e64 v2, null, s53, 0, s1
	v_mov_b32_e32 v4, v0
	s_mov_b32 s3, 0
.LBB2_7:                                ; =>This Inner Loop Header: Depth=1
	v_add_nc_u32_e32 v4, 0x100, v4
	global_store_dword v[1:2], v3, off
	v_add_co_u32 v1, s1, 0x400, v1
	v_add_co_ci_u32_e64 v2, null, 0, v2, s1
	v_cmp_le_i32_e32 vcc_lo, s44, v4
	s_or_b32 s3, vcc_lo, s3
	s_andn2_b32 exec_lo, exec_lo, s3
	s_cbranch_execnz .LBB2_7
.LBB2_8:
	s_or_b32 exec_lo, exec_lo, s2
	s_load_dwordx8 s[24:31], s[4:5], 0x48
	s_mov_b32 s11, 0
	v_mov_b32_e32 v1, 0
	s_mov_b32 s45, s11
	s_waitcnt lgkmcnt(0)
	s_mul_i32 s1, s24, s7
	s_mul_hi_u32 s2, s24, s6
	s_mul_i32 s3, s25, s6
	s_add_i32 s1, s2, s1
	s_mul_i32 s2, s24, s6
	s_add_i32 s3, s1, s3
	s_lshl_b64 s[2:3], s[2:3], 2
	s_add_u32 s33, s50, s2
	s_addc_u32 s104, s51, s3
	s_lshl_b64 s[2:3], s[44:45], 2
	s_add_u32 s2, s33, s2
	s_addc_u32 s3, s104, s3
	v_writelane_b32 v58, s2, 2
	global_load_dword v2, v1, s[2:3] offset:-4
	v_writelane_b32 v58, s3, 3
	s_waitcnt vmcnt(0)
	v_cmp_gt_i32_e32 vcc_lo, 1, v2
	s_cbranch_vccnz .LBB2_254
; %bb.9:
	v_div_scale_f64 v[7:8], null, s[22:23], s[22:23], 1.0
	s_load_dword s24, s[4:5], 0x0
	s_mul_i32 s3, s38, s7
	s_mul_hi_u32 s13, s38, s6
	s_mul_i32 s25, s39, s6
	s_mul_i32 s12, s38, s6
	;; [unrolled: 1-line block ×3, first 2 shown]
	s_mul_hi_u32 s39, s42, s6
	s_mul_i32 s34, s42, s6
	s_mul_i32 s50, s48, s7
	s_mul_hi_u32 s51, s48, s6
	s_mul_i32 s38, s48, s6
	s_mul_i32 s48, s28, s7
	;; [unrolled: 3-line block ×3, first 2 shown]
	s_load_dwordx2 s[28:29], s[4:5], 0x68
	s_add_i32 s4, s13, s3
	v_div_scale_f64 v[11:12], vcc_lo, 1.0, s[22:23], 1.0
	s_add_i32 s13, s4, s25
	v_rcp_f64_e32 v[3:4], v[7:8]
	s_lshl_b64 s[4:5], s[12:13], 3
	s_waitcnt lgkmcnt(0)
	s_ashr_i32 s25, s24, 31
	s_add_u32 s45, s36, s4
	s_mul_i32 s43, s43, s6
	s_addc_u32 vcc_hi, s37, s5
	s_add_i32 s4, s39, s35
	s_mul_i32 s49, s49, s6
	s_add_i32 s35, s4, s43
	s_mul_i32 s56, s8, s7
	s_lshl_b64 s[4:5], s[34:35], 3
	s_mul_i32 s36, s24, 5
	s_add_u32 s82, s40, s4
	s_addc_u32 s58, s41, s5
	s_add_i32 s4, s51, s50
	s_mul_hi_u32 s57, s8, s6
	s_add_i32 s39, s4, s49
	s_mul_i32 s9, s9, s6
	s_lshl_b64 s[12:13], s[38:39], 3
	s_mul_i32 s8, s8, s6
	s_add_u32 s60, s46, s12
	s_addc_u32 s61, s47, s13
	s_add_i32 s7, s54, s48
	s_mul_hi_i32 s5, s24, s6
	v_fma_f64 v[5:6], -v[7:8], v[3:4], 1.0
	s_add_i32 s43, s7, s55
	s_mul_i32 s4, s24, s6
	s_lshl_b64 s[34:35], s[42:43], 2
	s_mul_hi_i32 s7, s36, s6
	s_mul_i32 s6, s36, s6
	s_add_u32 s73, s26, s34
	s_addc_u32 s13, s27, s35
	s_lshl_b64 s[34:35], s[6:7], 3
	v_add_nc_u32_e32 v13, s24, v0
	s_add_u32 s36, s16, s34
	s_addc_u32 s37, s17, s35
	s_lshl_b64 s[4:5], s[4:5], 2
	s_mov_b32 s12, s28
	s_add_u32 s18, s18, s4
	s_addc_u32 s19, s19, s5
	s_add_i32 s5, s57, s56
	v_writelane_b32 v58, s13, 4
	s_add_i32 s9, s5, s9
	s_ashr_i32 s13, s28, 31
	s_lshl_b64 s[8:9], s[8:9], 3
	s_mul_i32 s50, s24, 3
	v_fma_f64 v[3:4], v[3:4], v[5:6], v[3:4]
	v_max_f64 v[5:6], s[20:21], s[20:21]
	s_add_u32 s5, s30, s8
	s_addc_u32 s26, s31, s9
	s_lshl_b64 s[8:9], s[12:13], 3
	v_ashrrev_i32_e32 v14, 31, v13
	s_add_u32 s28, s5, s8
	s_addc_u32 s26, s26, s9
	s_ashr_i32 s51, s50, 31
	v_lshlrev_b32_e32 v17, 3, v0
	s_lshl_b64 s[8:9], s[50:51], 3
	v_lshlrev_b64 v[13:14], 3, v[13:14]
	s_add_u32 s30, s36, s8
	s_addc_u32 s31, s37, s9
	s_lshl_b64 s[46:47], s[24:25], 4
	v_add_nc_u32_e32 v46, 8, v17
	s_sub_u32 s27, 0, s46
	s_subb_u32 s62, 0, s47
	s_add_u32 s38, s30, s27
	s_addc_u32 s39, s31, s62
	s_lshl_b64 s[48:49], s[24:25], 3
	v_cmp_gt_u32_e64 s1, 0x80, v0
	v_fma_f64 v[9:10], -v[7:8], v[3:4], 1.0
	s_add_u32 s40, s38, s48
	s_addc_u32 s41, s39, s49
	s_add_u32 s42, s40, s46
	s_addc_u32 s43, s41, s47
	s_and_b32 s63, s0, s10
	v_cmp_gt_u32_e64 s2, 64, v0
	v_cmp_gt_u32_e64 s3, 32, v0
	v_sub_nc_u32_e32 v47, v46, v45
	v_cmp_gt_i32_e64 s4, s24, v0
	v_mov_b32_e32 v48, 1
	v_mov_b32_e32 v49, 0x3ff00000
	;; [unrolled: 1-line block ×3, first 2 shown]
	s_mov_b32 s64, 0xff800000
	s_mov_b32 s65, 0x41dfffff
	;; [unrolled: 1-line block ×3, first 2 shown]
                                        ; implicit-def: $vgpr27_vgpr28
                                        ; implicit-def: $sgpr69
	v_fma_f64 v[9:10], v[3:4], v[9:10], v[3:4]
	v_max_f64 v[3:4], v[5:6], 0
	v_add_co_u32 v5, s5, s36, v17
	v_add_co_ci_u32_e64 v6, null, s37, 0, s5
	v_mul_f64 v[15:16], v[11:12], v[9:10]
	v_fma_f64 v[11:12], -v[7:8], v[15:16], v[11:12]
	v_add_co_u32 v7, s5, s36, v13
	v_add_co_ci_u32_e64 v8, null, s37, v14, s5
                                        ; implicit-def: $vgpr13_vgpr14
	v_add_co_u32 v7, s5, v7, 8
	v_add_co_ci_u32_e64 v8, null, 0, v8, s5
	s_add_u32 s5, s82, 8
	v_writelane_b32 v58, s5, 5
	s_addc_u32 s5, s58, 0
	v_writelane_b32 v58, s5, 6
	s_add_u32 s5, s45, 8
	v_writelane_b32 v58, s5, 7
	v_div_fmas_f64 v[11:12], v[11:12], v[9:10], v[15:16]
	s_addc_u32 s5, vcc_hi, 0
                                        ; implicit-def: $vgpr15_vgpr16
	v_writelane_b32 v58, s5, 8
	s_add_u32 s5, s34, s8
	s_addc_u32 s10, s35, s9
	s_add_u32 s13, s16, s5
	s_addc_u32 s34, s17, s10
	v_add_co_u32 v9, s8, s13, v17
	v_add_co_ci_u32_e64 v10, null, s34, 0, s8
	s_mov_b32 s8, s50
	s_lshl_b32 s12, s24, 1
	v_writelane_b32 v58, s8, 9
	s_sub_u32 s46, s5, s46
	s_subb_u32 s47, s10, s47
	s_add_u32 s6, s6, s50
	s_addc_u32 s7, s7, s51
	v_writelane_b32 v58, s9, 10
	s_add_u32 s8, s6, s24
	s_addc_u32 s9, s7, s25
	v_div_fixup_f64 v[11:12], v[11:12], s[22:23], 1.0
	s_lshl_b64 s[8:9], s[8:9], 3
	s_lshl_b64 s[6:7], s[6:7], 3
	v_writelane_b32 v58, s8, 11
	s_sub_u32 s50, s6, s48
	s_subb_u32 s51, s7, s49
	s_add_u32 s54, s5, 8
	s_addc_u32 s55, s10, 0
	v_writelane_b32 v58, s9, 12
	s_add_u32 s56, s13, 16
	s_mov_b32 s13, s58
	s_addc_u32 s57, s34, 0
	s_add_u32 s58, s36, 8
	v_writelane_b32 v58, s82, 13
	s_addc_u32 s59, s37, 0
	s_mov_b32 s25, 0
                                        ; implicit-def: $vgpr17_vgpr18
	v_writelane_b32 v58, s13, 14
	v_writelane_b32 v58, s73, 15
	s_branch .LBB2_12
.LBB2_10:                               ;   in Loop: Header=BB2_12 Depth=1
	v_readlane_b32 s6, v58, 2
	v_readlane_b32 s7, v58, 3
	;; [unrolled: 1-line block ×5, first 2 shown]
	s_mov_b32 s25, s10
	global_load_dword v2, v1, s[6:7] offset:-4
.LBB2_11:                               ;   in Loop: Header=BB2_12 Depth=1
	s_add_i32 s66, s66, 1
	s_waitcnt vmcnt(0)
	v_cmp_ge_i32_e32 vcc_lo, s66, v2
	s_cbranch_vccnz .LBB2_254
.LBB2_12:                               ; =>This Loop Header: Depth=1
                                        ;     Child Loop BB2_17 Depth 2
                                        ;     Child Loop BB2_22 Depth 2
                                        ;       Child Loop BB2_32 Depth 3
                                        ;       Child Loop BB2_35 Depth 3
	;; [unrolled: 1-line block ×4, first 2 shown]
                                        ;         Child Loop BB2_69 Depth 4
                                        ;         Child Loop BB2_108 Depth 4
                                        ;         Child Loop BB2_111 Depth 4
                                        ;         Child Loop BB2_114 Depth 4
                                        ;         Child Loop BB2_121 Depth 4
                                        ;           Child Loop BB2_127 Depth 5
                                        ;         Child Loop BB2_141 Depth 4
                                        ;           Child Loop BB2_142 Depth 5
                                        ;           Child Loop BB2_144 Depth 5
                                        ;         Child Loop BB2_149 Depth 4
                                        ;       Child Loop BB2_192 Depth 3
                                        ;       Child Loop BB2_231 Depth 3
	;; [unrolled: 1-line block ×4, first 2 shown]
	v_readlane_b32 s5, v58, 4
	s_mov_b32 s68, 0
	s_cmp_eq_u32 s66, 0
	s_mov_b64 s[6:7], 0
	s_cbranch_scc1 .LBB2_14
; %bb.13:                               ;   in Loop: Header=BB2_12 Depth=1
	s_mov_b32 s67, s11
	s_lshl_b64 s[6:7], s[66:67], 2
	s_add_u32 s6, s73, s6
	s_addc_u32 s7, s5, s7
	global_load_dword v19, v1, s[6:7] offset:-4
	s_mov_b64 s[6:7], s[66:67]
	s_waitcnt vmcnt(0)
	v_readfirstlane_b32 s68, v19
.LBB2_14:                               ;   in Loop: Header=BB2_12 Depth=1
	s_lshl_b64 s[6:7], s[6:7], 2
	s_add_u32 s6, s73, s6
	s_addc_u32 s7, s5, s7
	s_not_b32 s5, s68
	global_load_dword v19, v1, s[6:7]
	s_waitcnt vmcnt(0)
	v_readfirstlane_b32 s70, v19
	v_subrev_nc_u32_e32 v51, s68, v19
	s_add_i32 s72, s5, s70
	s_cmp_lt_i32 s72, 1
	s_cselect_b32 s67, -1, 0
	s_and_b32 vcc_lo, exec_lo, s67
	s_cbranch_vccnz .LBB2_19
; %bb.15:                               ;   in Loop: Header=BB2_12 Depth=1
	s_ashr_i32 s69, s68, 31
	s_lshl_b64 s[8:9], s[68:69], 3
	s_add_u32 s6, s45, s8
	s_addc_u32 s7, vcc_hi, s9
	s_add_u32 s34, s82, s8
	s_addc_u32 s35, s13, s9
	s_ashr_i32 s71, s70, 31
	s_lshl_b64 s[48:49], s[70:71], 3
	s_add_u32 s74, s45, s48
	s_addc_u32 s75, vcc_hi, s49
	s_add_i32 s5, s70, -2
	s_add_u32 s48, s82, s48
	s_addc_u32 s49, s13, s49
	s_clause 0x3
	global_load_dwordx2 v[13:14], v1, s[6:7]
	global_load_dwordx2 v[15:16], v1, s[34:35]
	global_load_dwordx2 v[17:18], v1, s[74:75] offset:-8
	global_load_dwordx2 v[19:20], v1, s[48:49] offset:-16
	s_cmp_ge_i32 s68, s5
	s_waitcnt vmcnt(2)
	v_add_f64 v[13:14], |v[13:14]|, |v[15:16]|
	s_waitcnt vmcnt(0)
	v_add_f64 v[17:18], |v[17:18]|, |v[19:20]|
	v_cmp_lt_f64_e32 vcc_lo, v[13:14], v[17:18]
	v_cndmask_b32_e32 v14, v14, v18, vcc_lo
	v_cndmask_b32_e32 v13, v13, v17, vcc_lo
	s_cbranch_scc1 .LBB2_18
; %bb.16:                               ;   in Loop: Header=BB2_12 Depth=1
	v_readlane_b32 s6, v58, 5
	v_readlane_b32 s7, v58, 6
	;; [unrolled: 1-line block ×3, first 2 shown]
	s_add_u32 s6, s6, s8
	s_addc_u32 s7, s7, s9
	s_add_u32 s8, s10, s8
	v_readlane_b32 s10, v58, 8
	s_addc_u32 s9, s10, s9
	s_mov_b32 s10, s68
	.p2align	6
.LBB2_17:                               ;   Parent Loop BB2_12 Depth=1
                                        ; =>  This Inner Loop Header: Depth=2
	global_load_dwordx2 v[17:18], v1, s[8:9]
	s_add_i32 s10, s10, 1
	s_waitcnt vmcnt(0)
	v_add_f64 v[17:18], |v[15:16]|, |v[17:18]|
	global_load_dwordx2 v[15:16], v1, s[6:7]
	s_add_u32 s6, s6, 8
	s_addc_u32 s7, s7, 0
	s_add_u32 s8, s8, 8
	s_addc_u32 s9, s9, 0
	s_cmp_lt_i32 s10, s5
	s_waitcnt vmcnt(0)
	v_add_f64 v[17:18], v[17:18], |v[15:16]|
	v_cmp_lt_f64_e32 vcc_lo, v[13:14], v[17:18]
	v_cndmask_b32_e32 v14, v14, v18, vcc_lo
	v_cndmask_b32_e32 v13, v13, v17, vcc_lo
	s_cbranch_scc1 .LBB2_17
.LBB2_18:                               ;   in Loop: Header=BB2_12 Depth=1
	v_cvt_f64_u32_e32 v[15:16], v51
	s_mov_b32 s6, 0x9999999a
	s_mov_b32 s7, 0x3fb99999
	;; [unrolled: 1-line block ×3, first 2 shown]
	v_div_scale_f64 v[17:18], null, v[15:16], v[15:16], s[6:7]
	v_div_scale_f64 v[23:24], vcc_lo, s[6:7], v[15:16], s[6:7]
	v_rcp_f64_e32 v[19:20], v[17:18]
	v_fma_f64 v[21:22], -v[17:18], v[19:20], 1.0
	v_fma_f64 v[19:20], v[19:20], v[21:22], v[19:20]
	v_fma_f64 v[21:22], -v[17:18], v[19:20], 1.0
	v_fma_f64 v[19:20], v[19:20], v[21:22], v[19:20]
	v_mul_f64 v[21:22], v[23:24], v[19:20]
	v_fma_f64 v[17:18], -v[17:18], v[21:22], v[23:24]
	v_div_fmas_f64 v[17:18], v[17:18], v[19:20], v[21:22]
	v_div_fixup_f64 v[15:16], v[17:18], v[15:16], s[6:7]
	s_mov_b32 s6, 0xd2f1a9fc
	s_mov_b32 s7, 0x3f50624d
	v_cmp_gt_f64_e32 vcc_lo, 0x10000000, v[15:16]
	s_and_b32 s5, vcc_lo, exec_lo
	s_cselect_b32 s5, 0x100, 0
	v_ldexp_f64 v[15:16], v[15:16], s5
	s_cselect_b32 s5, 0xffffff80, 0
	v_rsq_f64_e32 v[17:18], v[15:16]
	v_cmp_class_f64_e64 vcc_lo, v[15:16], 0x260
	v_mul_f64 v[19:20], v[15:16], v[17:18]
	v_mul_f64 v[17:18], v[17:18], 0.5
	v_fma_f64 v[21:22], -v[17:18], v[19:20], 0.5
	v_fma_f64 v[19:20], v[19:20], v[21:22], v[19:20]
	v_fma_f64 v[17:18], v[17:18], v[21:22], v[17:18]
	v_fma_f64 v[21:22], -v[19:20], v[19:20], v[15:16]
	v_fma_f64 v[19:20], v[21:22], v[17:18], v[19:20]
	v_fma_f64 v[21:22], -v[19:20], v[19:20], v[15:16]
	v_fma_f64 v[17:18], v[21:22], v[17:18], v[19:20]
	v_ldexp_f64 v[19:20], v[17:18], s5
	v_mul_f64 v[17:18], v[13:14], s[6:7]
	v_cndmask_b32_e32 v16, v20, v16, vcc_lo
	v_cndmask_b32_e32 v15, v19, v15, vcc_lo
.LBB2_19:                               ;   in Loop: Header=BB2_12 Depth=1
	s_cmp_ge_i32 s25, s44
	s_cbranch_scc1 .LBB2_11
; %bb.20:                               ;   in Loop: Header=BB2_12 Depth=1
	v_cvt_f64_u32_e32 v[19:20], v51
	s_ashr_i32 s71, s70, 31
	v_add_nc_u32_e32 v21, s68, v0
	s_lshl_b64 s[6:7], s[70:71], 3
	s_mov_b32 s73, s11
	s_add_u32 s74, s45, s6
	s_addc_u32 s75, vcc_hi, s7
	v_readlane_b32 s6, v58, 9
	v_ashrrev_i32_e32 v22, 31, v21
	v_readlane_b32 s7, v58, 10
	v_cmp_ge_i32_e64 s5, s72, v0
	s_mov_b32 s34, 0
	s_add_i32 s6, s72, s6
	v_lshlrev_b64 v[23:24], 3, v[21:22]
	s_ashr_i32 s7, s6, 31
	s_mul_i32 s35, s29, s25
	s_lshl_b64 s[6:7], s[6:7], 3
	s_add_u32 s76, s36, s6
	s_addc_u32 s77, s37, s7
	s_lshl_b64 s[8:9], s[72:73], 2
	v_add_co_u32 v21, vcc_lo, s45, v23
	v_mul_f64 v[19:20], v[13:14], v[19:20]
	s_add_u32 s78, s18, s8
	s_addc_u32 s79, s19, s9
	s_lshl_b64 s[8:9], s[72:73], 3
	v_add_co_ci_u32_e64 v22, null, vcc_hi, v24, vcc_lo
	v_add_co_u32 v23, vcc_lo, s82, v23
	s_add_i32 s71, s72, -1
	v_cmp_gt_i32_e64 s6, s72, v0
	s_add_u32 s80, s30, s8
	v_cmp_lt_u32_e64 s7, v0, v51
	v_cmp_lt_u32_e64 s8, 2, v51
	v_add_co_ci_u32_e64 v24, null, s13, v24, vcc_lo
	s_addc_u32 s81, s31, s9
	s_sub_i32 s73, s70, s68
	s_sub_i32 s13, 0, s68
	s_mov_b32 s82, s25
	s_branch .LBB2_22
.LBB2_21:                               ;   in Loop: Header=BB2_22 Depth=2
	s_mov_b32 s10, s82
                                        ; implicit-def: $sgpr34
                                        ; implicit-def: $sgpr35
	s_and_b32 vcc_lo, exec_lo, s9
	s_cbranch_vccnz .LBB2_10
.LBB2_22:                               ;   Parent Loop BB2_12 Depth=1
                                        ; =>  This Loop Header: Depth=2
                                        ;       Child Loop BB2_32 Depth 3
                                        ;       Child Loop BB2_35 Depth 3
	;; [unrolled: 1-line block ×4, first 2 shown]
                                        ;         Child Loop BB2_69 Depth 4
                                        ;         Child Loop BB2_108 Depth 4
                                        ;         Child Loop BB2_111 Depth 4
                                        ;         Child Loop BB2_114 Depth 4
                                        ;         Child Loop BB2_121 Depth 4
                                        ;           Child Loop BB2_127 Depth 5
                                        ;         Child Loop BB2_141 Depth 4
                                        ;           Child Loop BB2_142 Depth 5
                                        ;           Child Loop BB2_144 Depth 5
                                        ;         Child Loop BB2_149 Depth 4
                                        ;       Child Loop BB2_192 Depth 3
                                        ;       Child Loop BB2_231 Depth 3
	;; [unrolled: 1-line block ×4, first 2 shown]
	s_ashr_i32 s83, s82, 31
	s_mov_b32 s9, -1
	s_lshl_b64 s[48:49], s[82:83], 2
	s_add_u32 s48, s33, s48
	s_addc_u32 s49, s104, s49
	global_load_dword v2, v1, s[48:49]
	s_waitcnt vmcnt(0)
	v_add_nc_u32_e32 v2, -1, v2
	v_cmp_ne_u32_e32 vcc_lo, s66, v2
	s_cbranch_vccnz .LBB2_21
; %bb.23:                               ;   in Loop: Header=BB2_22 Depth=2
	s_lshl_b64 s[48:49], s[82:83], 3
	s_add_u32 s48, s60, s48
	s_addc_u32 s49, s61, s49
	s_and_b32 vcc_lo, exec_lo, s67
	global_load_dwordx2 v[25:26], v1, s[48:49]
	s_cbranch_vccz .LBB2_27
; %bb.24:                               ;   in Loop: Header=BB2_22 Depth=2
	s_and_saveexec_b32 s9, s0
	s_cbranch_execz .LBB2_26
; %bb.25:                               ;   in Loop: Header=BB2_22 Depth=2
	v_mov_b32_e32 v2, v49
	global_store_dwordx2 v1, v[1:2], s[36:37]
.LBB2_26:                               ;   in Loop: Header=BB2_22 Depth=2
	s_or_b32 exec_lo, exec_lo, s9
	s_waitcnt vmcnt(0)
	s_waitcnt_vscnt null, 0x0
	s_mov_b32 s9, 0
	s_barrier
.LBB2_27:                               ;   in Loop: Header=BB2_22 Depth=2
	s_and_b32 vcc_lo, exec_lo, s9
	s_cbranch_vccz .LBB2_62
; %bb.28:                               ;   in Loop: Header=BB2_22 Depth=2
	s_cmp_lg_u32 s34, 0
	s_cselect_b32 s83, -1, 0
	s_cmp_eq_u32 s34, 0
	s_cbranch_scc1 .LBB2_30
; %bb.29:                               ;   in Loop: Header=BB2_22 Depth=2
	s_waitcnt vmcnt(0)
	v_mul_f64 v[29:30], s[20:21], v[25:26]
	v_add_f64 v[33:34], v[25:26], -v[27:28]
	v_mul_f64 v[31:32], 0x40240000, |v[29:30]|
	v_fma_f64 v[29:30], 0x40240000, |v[29:30]|, v[27:28]
	v_cmp_lt_f64_e32 vcc_lo, v[33:34], v[31:32]
	v_cndmask_b32_e32 v26, v26, v30, vcc_lo
	v_cndmask_b32_e32 v25, v25, v29, vcc_lo
.LBB2_30:                               ;   in Loop: Header=BB2_22 Depth=2
	s_and_saveexec_b32 s10, s5
	s_cbranch_execz .LBB2_33
; %bb.31:                               ;   in Loop: Header=BB2_22 Depth=2
	s_mul_i32 s9, s66, s44
	s_mov_b32 s48, 0
	s_add_i32 s9, s82, s9
	v_lshl_or_b32 v2, s9, 8, v0
	v_add_nc_u32_e32 v29, 1, v2
	v_sub_nc_u32_e32 v32, 0x7ffffffe, v2
	v_mul_hi_i32 v30, 0x40000001, v29
	v_cmp_gt_u32_e32 vcc_lo, 0x7fffff07, v32
	v_lshrrev_b32_e32 v31, 31, v30
	v_ashrrev_i32_e32 v30, 29, v30
	v_add_nc_u32_e32 v30, v30, v31
	v_sub_nc_u32_e32 v31, 0xf7, v2
	v_mul_lo_u32 v30, 0x7fffffff, v30
	v_max_u32_e32 v31, 1, v31
	v_cndmask_b32_e32 v31, v31, v32, vcc_lo
	v_cmp_ne_u32_e32 vcc_lo, 0x7ffffffe, v2
	v_sub_nc_u32_e32 v32, v29, v30
	v_mov_b32_e32 v30, v6
	v_mov_b32_e32 v29, v5
	;; [unrolled: 1-line block ×3, first 2 shown]
	v_cndmask_b32_e32 v31, 1, v31, vcc_lo
	v_max_i32_e32 v32, 1, v32
.LBB2_32:                               ;   Parent Loop BB2_12 Depth=1
                                        ;     Parent Loop BB2_22 Depth=2
                                        ; =>    This Inner Loop Header: Depth=3
	v_mul_hi_i32 v33, 0x5e4789c9, v32
	v_mul_hi_i32 v34, 0x4f7a09cd, v31
	v_add_nc_u32_e32 v2, 0x100, v2
	v_lshrrev_b32_e32 v35, 31, v33
	v_ashrrev_i32_e32 v33, 14, v33
	v_lshrrev_b32_e32 v36, 31, v34
	v_ashrrev_i32_e32 v34, 14, v34
	v_add_nc_u32_e32 v33, v33, v35
	v_add_nc_u32_e32 v34, v34, v36
	v_mul_i32_i24_e32 v35, 0xadc8, v33
	v_mul_i32_i24_e32 v36, 0xce26, v34
	v_sub_nc_u32_e32 v32, v32, v35
	v_sub_nc_u32_e32 v31, v31, v36
	v_mul_lo_u32 v32, 0xbc8f, v32
	v_mul_lo_u32 v31, 0x9ef4, v31
	v_mad_i32_i24 v32, 0xfffff2b9, v33, v32
	v_mad_i32_i24 v31, 0xfffff131, v34, v31
	v_ashrrev_i32_e32 v33, 31, v32
	v_ashrrev_i32_e32 v34, 31, v31
	v_and_b32_e32 v33, 0x7fffffff, v33
	v_and_b32_e32 v34, 0x7fffff07, v34
	v_add_nc_u32_e32 v32, v33, v32
	v_add_nc_u32_e32 v31, v34, v31
	v_sub_nc_u32_e32 v33, v32, v31
	v_ashrrev_i32_e32 v34, 31, v33
	v_and_b32_e32 v34, 0x7fffffff, v34
	v_add_nc_u32_e32 v33, v34, v33
	v_cvt_f64_i32_e32 v[33:34], v33
	v_div_scale_f64 v[35:36], null, s[64:65], s[64:65], v[33:34]
	v_div_scale_f64 v[41:42], vcc_lo, v[33:34], s[64:65], v[33:34]
	v_rcp_f64_e32 v[37:38], v[35:36]
	v_fma_f64 v[39:40], -v[35:36], v[37:38], 1.0
	v_fma_f64 v[37:38], v[37:38], v[39:40], v[37:38]
	v_fma_f64 v[39:40], -v[35:36], v[37:38], 1.0
	v_fma_f64 v[37:38], v[37:38], v[39:40], v[37:38]
	v_mul_f64 v[39:40], v[41:42], v[37:38]
	v_fma_f64 v[35:36], -v[35:36], v[39:40], v[41:42]
	v_div_fmas_f64 v[35:36], v[35:36], v[37:38], v[39:40]
	v_cmp_lt_i32_e32 vcc_lo, s72, v2
	s_or_b32 s48, vcc_lo, s48
	v_div_fixup_f64 v[33:34], v[35:36], s[64:65], v[33:34]
	global_store_dwordx2 v[29:30], v[33:34], off
	v_add_co_u32 v29, s9, 0x800, v29
	v_add_co_ci_u32_e64 v30, null, 0, v30, s9
	s_andn2_b32 exec_lo, exec_lo, s48
	s_cbranch_execnz .LBB2_32
.LBB2_33:                               ;   in Loop: Header=BB2_22 Depth=2
	s_or_b32 exec_lo, exec_lo, s10
	s_and_saveexec_b32 s10, s6
	s_cbranch_execz .LBB2_36
; %bb.34:                               ;   in Loop: Header=BB2_22 Depth=2
	v_mov_b32_e32 v30, v24
	v_mov_b32_e32 v32, v22
	;; [unrolled: 1-line block ×9, first 2 shown]
	s_mov_b32 s48, 0
	s_inst_prefetch 0x1
	.p2align	6
.LBB2_35:                               ;   Parent Loop BB2_12 Depth=1
                                        ;     Parent Loop BB2_22 Depth=2
                                        ; =>    This Inner Loop Header: Depth=3
	global_load_dwordx2 v[37:38], v[31:32], off
	v_add_nc_u32_e32 v39, s12, v2
	v_add_nc_u32_e32 v2, 0x100, v2
	v_add_co_u32 v31, vcc_lo, 0x800, v31
	v_add_co_ci_u32_e64 v32, null, 0, v32, vcc_lo
	v_ashrrev_i32_e32 v40, 31, v39
	v_cmp_le_i32_e32 vcc_lo, s72, v2
	v_lshlrev_b64 v[39:40], 3, v[39:40]
	s_or_b32 s48, vcc_lo, s48
	v_add_co_u32 v39, s9, s36, v39
	v_add_co_ci_u32_e64 v40, null, s37, v40, s9
	s_waitcnt vmcnt(0)
	global_store_dwordx2 v[35:36], v[37:38], off
	global_load_dwordx2 v[37:38], v[29:30], off
	v_add_co_u32 v35, s9, 0x800, v35
	v_add_co_ci_u32_e64 v36, null, 0, v36, s9
	v_add_co_u32 v29, s9, 0x800, v29
	v_add_co_ci_u32_e64 v30, null, 0, v30, s9
	s_waitcnt vmcnt(0)
	global_store_dwordx2 v[39:40], v[37:38], off
	global_store_dwordx2 v[33:34], v[37:38], off
	v_add_co_u32 v33, s9, 0x800, v33
	v_add_co_ci_u32_e64 v34, null, 0, v34, s9
	s_andn2_b32 exec_lo, exec_lo, s48
	s_cbranch_execnz .LBB2_35
.LBB2_36:                               ;   in Loop: Header=BB2_22 Depth=2
	s_inst_prefetch 0x2
	s_or_b32 exec_lo, exec_lo, s10
	s_and_saveexec_b32 s9, s0
	s_cbranch_execz .LBB2_38
; %bb.37:                               ;   in Loop: Header=BB2_22 Depth=2
	global_load_dwordx2 v[29:30], v1, s[74:75] offset:-8
	s_waitcnt vmcnt(0)
	global_store_dwordx2 v1, v[29:30], s[76:77]
.LBB2_38:                               ;   in Loop: Header=BB2_22 Depth=2
	s_or_b32 exec_lo, exec_lo, s9
	s_waitcnt vmcnt(0)
	s_waitcnt_vscnt null, 0x0
	s_barrier
	buffer_gl0_inv
	s_and_saveexec_b32 s9, s0
	s_cbranch_execz .LBB2_66
; %bb.39:                               ;   in Loop: Header=BB2_22 Depth=2
	global_load_dwordx2 v[29:30], v1, s[30:31]
	v_readlane_b32 s90, v58, 11
	v_readlane_b32 s91, v58, 12
	s_mov_b32 s10, 1
	s_mov_b64 s[84:85], s[54:55]
	s_mov_b64 s[86:87], s[50:51]
	;; [unrolled: 1-line block ×4, first 2 shown]
	global_store_dword v1, v1, s[78:79]
	s_waitcnt vmcnt(0)
	v_add_f64 v[29:30], v[29:30], -v[25:26]
	global_store_dwordx2 v1, v[29:30], s[30:31]
	global_load_dwordx2 v[31:32], v1, s[38:39] offset:8
	s_waitcnt vmcnt(0)
	v_add_f64 v[29:30], |v[29:30]|, |v[31:32]|
	s_branch .LBB2_41
.LBB2_40:                               ;   in Loop: Header=BB2_41 Depth=3
	s_add_u32 s92, s92, 8
	s_addc_u32 s93, s93, 0
	s_add_u32 s90, s90, 8
	s_addc_u32 s91, s91, 0
	;; [unrolled: 2-line block ×4, first 2 shown]
	s_add_i32 s10, s10, 1
	s_add_u32 s84, s84, 8
	s_addc_u32 s85, s85, 0
	s_cmp_eq_u32 s73, s10
	s_cbranch_scc1 .LBB2_63
.LBB2_41:                               ;   Parent Loop BB2_12 Depth=1
                                        ;     Parent Loop BB2_22 Depth=2
                                        ; =>    This Inner Loop Header: Depth=3
	s_add_i32 s49, s10, -1
	s_add_u32 s96, s16, s84
	s_addc_u32 s97, s17, s85
	s_add_u32 s94, s16, s86
	global_load_dwordx2 v[31:32], v1, s[96:97]
	s_addc_u32 s95, s17, s87
	s_cmp_lt_u32 s49, s71
	s_cselect_b32 s48, -1, 0
	s_cmp_ge_u32 s49, s71
	s_waitcnt vmcnt(0)
	v_add_f64 v[35:36], v[31:32], -v[25:26]
	global_store_dwordx2 v1, v[35:36], s[96:97]
	global_load_dwordx2 v[39:40], v1, s[94:95]
	s_waitcnt vmcnt(0)
	v_add_f64 v[31:32], |v[35:36]|, |v[39:40]|
	s_cbranch_scc1 .LBB2_43
; %bb.42:                               ;   in Loop: Header=BB2_41 Depth=3
	s_add_u32 s98, s16, s92
	s_addc_u32 s99, s17, s93
	global_load_dwordx2 v[33:34], v1, s[98:99] offset:16
	s_waitcnt vmcnt(0)
	v_add_f64 v[31:32], v[31:32], |v[33:34]|
.LBB2_43:                               ;   in Loop: Header=BB2_41 Depth=3
	global_load_dwordx2 v[41:42], v1, s[96:97] offset:-8
	s_waitcnt vmcnt(0)
	v_cmp_eq_f64_e32 vcc_lo, 0, v[41:42]
	s_cbranch_vccnz .LBB2_54
; %bb.44:                               ;   in Loop: Header=BB2_41 Depth=3
	v_and_b32_e32 v34, 0x7fffffff, v42
	v_mov_b32_e32 v33, v41
	v_div_scale_f64 v[37:38], null, v[29:30], v[29:30], v[33:34]
	v_div_scale_f64 v[33:34], vcc_lo, v[33:34], v[29:30], v[33:34]
	v_rcp_f64_e32 v[43:44], v[37:38]
	v_fma_f64 v[52:53], -v[37:38], v[43:44], 1.0
	v_fma_f64 v[43:44], v[43:44], v[52:53], v[43:44]
	v_fma_f64 v[52:53], -v[37:38], v[43:44], 1.0
	v_fma_f64 v[43:44], v[43:44], v[52:53], v[43:44]
	v_mul_f64 v[52:53], v[33:34], v[43:44]
	v_fma_f64 v[33:34], -v[37:38], v[52:53], v[33:34]
	v_div_fmas_f64 v[33:34], v[33:34], v[43:44], v[52:53]
	v_div_fixup_f64 v[33:34], v[33:34], v[29:30], |v[41:42]|
	v_cmp_neq_f64_e32 vcc_lo, 0, v[39:40]
	s_cbranch_vccz .LBB2_55
.LBB2_45:                               ;   in Loop: Header=BB2_41 Depth=3
	v_and_b32_e32 v38, 0x7fffffff, v40
	v_mov_b32_e32 v37, v39
	s_mov_b32 s49, -1
	v_div_scale_f64 v[43:44], null, v[31:32], v[31:32], v[37:38]
	v_div_scale_f64 v[37:38], vcc_lo, v[37:38], v[31:32], v[37:38]
	v_rcp_f64_e32 v[52:53], v[43:44]
	v_fma_f64 v[54:55], -v[43:44], v[52:53], 1.0
	v_fma_f64 v[52:53], v[52:53], v[54:55], v[52:53]
	v_fma_f64 v[54:55], -v[43:44], v[52:53], 1.0
	v_fma_f64 v[52:53], v[52:53], v[54:55], v[52:53]
	v_mul_f64 v[54:55], v[37:38], v[52:53]
	v_fma_f64 v[37:38], -v[43:44], v[54:55], v[37:38]
	v_div_fmas_f64 v[37:38], v[37:38], v[52:53], v[54:55]
	v_div_fixup_f64 v[37:38], v[37:38], v[31:32], |v[39:40]|
	v_cmp_nle_f64_e32 vcc_lo, v[37:38], v[33:34]
	s_cbranch_vccnz .LBB2_49
; %bb.46:                               ;   in Loop: Header=BB2_41 Depth=3
	v_div_scale_f64 v[43:44], null, v[41:42], v[41:42], v[39:40]
	s_add_u32 s98, s16, s92
	s_addc_u32 s99, s17, s93
	v_rcp_f64_e32 v[52:53], v[43:44]
	v_fma_f64 v[54:55], -v[43:44], v[52:53], 1.0
	v_fma_f64 v[52:53], v[52:53], v[54:55], v[52:53]
	v_fma_f64 v[54:55], -v[43:44], v[52:53], 1.0
	v_fma_f64 v[52:53], v[52:53], v[54:55], v[52:53]
	v_div_scale_f64 v[54:55], vcc_lo, v[39:40], v[41:42], v[39:40]
	v_mul_f64 v[56:57], v[54:55], v[52:53]
	v_fma_f64 v[43:44], -v[43:44], v[56:57], v[54:55]
	v_div_fmas_f64 v[43:44], v[43:44], v[52:53], v[56:57]
	s_andn2_b32 vcc_lo, exec_lo, s48
	v_div_fixup_f64 v[43:44], v[43:44], v[41:42], v[39:40]
	global_store_dwordx2 v1, v[43:44], s[94:95]
	s_clause 0x1
	global_load_dwordx2 v[52:53], v1, s[96:97]
	global_load_dwordx2 v[54:55], v1, s[98:99] offset:8
	s_waitcnt vmcnt(0)
	v_fma_f64 v[43:44], -v[43:44], v[54:55], v[52:53]
	global_store_dwordx2 v1, v[43:44], s[96:97]
	global_store_dword v1, v1, s[88:89]
	s_cbranch_vccnz .LBB2_48
; %bb.47:                               ;   in Loop: Header=BB2_41 Depth=3
	v_mov_b32_e32 v2, v1
	s_add_u32 s98, s16, s90
	s_addc_u32 s99, s17, s91
	global_store_dwordx2 v1, v[1:2], s[98:99]
.LBB2_48:                               ;   in Loop: Header=BB2_41 Depth=3
	s_mov_b32 s49, 0
.LBB2_49:                               ;   in Loop: Header=BB2_41 Depth=3
	v_mov_b32_e32 v44, v32
	v_mov_b32_e32 v43, v31
	s_andn2_b32 vcc_lo, exec_lo, s49
	s_cbranch_vccnz .LBB2_53
; %bb.50:                               ;   in Loop: Header=BB2_41 Depth=3
	v_div_scale_f64 v[43:44], null, v[39:40], v[39:40], v[41:42]
	s_add_u32 s98, s16, s92
	s_addc_u32 s99, s17, s93
	global_store_dwordx2 v1, v[39:40], s[96:97] offset:-8
	v_rcp_f64_e32 v[52:53], v[43:44]
	v_fma_f64 v[54:55], -v[43:44], v[52:53], 1.0
	v_fma_f64 v[52:53], v[52:53], v[54:55], v[52:53]
	v_fma_f64 v[54:55], -v[43:44], v[52:53], 1.0
	v_fma_f64 v[52:53], v[52:53], v[54:55], v[52:53]
	v_div_scale_f64 v[54:55], vcc_lo, v[41:42], v[39:40], v[41:42]
	v_mul_f64 v[56:57], v[54:55], v[52:53]
	v_fma_f64 v[43:44], -v[43:44], v[56:57], v[54:55]
	v_div_fmas_f64 v[43:44], v[43:44], v[52:53], v[56:57]
	s_andn2_b32 vcc_lo, exec_lo, s48
	v_div_fixup_f64 v[39:40], v[43:44], v[39:40], v[41:42]
	global_load_dwordx2 v[41:42], v1, s[98:99] offset:8
	s_waitcnt vmcnt(0)
	v_fma_f64 v[41:42], -v[35:36], v[39:40], v[41:42]
	global_store_dwordx2 v1, v[41:42], s[96:97]
	global_store_dword v1, v48, s[88:89]
	s_cbranch_vccnz .LBB2_52
; %bb.51:                               ;   in Loop: Header=BB2_41 Depth=3
	global_load_dwordx2 v[41:42], v1, s[98:99] offset:16
	s_add_u32 s96, s16, s90
	s_addc_u32 s97, s17, s91
	s_waitcnt vmcnt(0)
	v_mul_f64 v[43:44], v[41:42], -v[39:40]
	global_store_dwordx2 v1, v[41:42], s[96:97]
	global_store_dwordx2 v1, v[43:44], s[98:99] offset:16
.LBB2_52:                               ;   in Loop: Header=BB2_41 Depth=3
	v_mov_b32_e32 v44, v30
	v_mov_b32_e32 v43, v29
	global_store_dwordx2 v1, v[35:36], s[98:99] offset:8
	global_store_dwordx2 v1, v[39:40], s[94:95]
.LBB2_53:                               ;   in Loop: Header=BB2_41 Depth=3
	v_mov_b32_e32 v29, v43
	v_mov_b32_e32 v30, v44
	s_cbranch_execz .LBB2_56
	s_branch .LBB2_59
.LBB2_54:                               ;   in Loop: Header=BB2_41 Depth=3
	v_mov_b32_e32 v33, 0
	v_mov_b32_e32 v34, 0
	v_cmp_neq_f64_e32 vcc_lo, 0, v[39:40]
	s_cbranch_vccnz .LBB2_45
.LBB2_55:                               ;   in Loop: Header=BB2_41 Depth=3
                                        ; implicit-def: $vgpr37_vgpr38
                                        ; implicit-def: $vgpr29_vgpr30
.LBB2_56:                               ;   in Loop: Header=BB2_41 Depth=3
	s_andn2_b32 vcc_lo, exec_lo, s48
	global_store_dword v1, v1, s[88:89]
	s_cbranch_vccnz .LBB2_58
; %bb.57:                               ;   in Loop: Header=BB2_41 Depth=3
	v_mov_b32_e32 v2, v1
	s_add_u32 s48, s16, s90
	s_addc_u32 s49, s17, s91
	global_store_dwordx2 v1, v[1:2], s[48:49]
.LBB2_58:                               ;   in Loop: Header=BB2_41 Depth=3
	v_mov_b32_e32 v37, 0
	v_mov_b32_e32 v29, v31
	;; [unrolled: 1-line block ×4, first 2 shown]
.LBB2_59:                               ;   in Loop: Header=BB2_41 Depth=3
	v_max_f64 v[31:32], v[37:38], v[37:38]
	v_max_f64 v[33:34], v[33:34], v[33:34]
	;; [unrolled: 1-line block ×3, first 2 shown]
	v_cmp_nle_f64_e32 vcc_lo, v[31:32], v[3:4]
	s_cbranch_vccnz .LBB2_40
; %bb.60:                               ;   in Loop: Header=BB2_41 Depth=3
	global_load_dword v2, v1, s[78:79]
	s_waitcnt vmcnt(0)
	v_cmp_ne_u32_e32 vcc_lo, 0, v2
	s_cbranch_vccnz .LBB2_40
; %bb.61:                               ;   in Loop: Header=BB2_41 Depth=3
	v_mov_b32_e32 v2, s10
	global_store_dword v1, v2, s[78:79]
	s_branch .LBB2_40
.LBB2_62:                               ;   in Loop: Header=BB2_22 Depth=2
	s_waitcnt vmcnt(0)
	v_mov_b32_e32 v28, v26
	v_mov_b32_e32 v27, v25
	s_waitcnt_vscnt null, 0x0
	buffer_gl0_inv
	s_and_saveexec_b32 s10, s4
	s_cbranch_execnz .LBB2_249
	s_branch .LBB2_253
.LBB2_63:                               ;   in Loop: Header=BB2_22 Depth=2
	global_load_dwordx2 v[31:32], v1, s[80:81]
	v_mul_f64 v[29:30], v[3:4], v[29:30]
	s_waitcnt vmcnt(0)
	v_cmp_le_f64_e64 s10, |v[31:32]|, v[29:30]
	s_and_b32 vcc_lo, exec_lo, s10
	s_cbranch_vccz .LBB2_66
; %bb.64:                               ;   in Loop: Header=BB2_22 Depth=2
	global_load_dword v2, v1, s[78:79]
	s_waitcnt vmcnt(0)
	v_cmp_ne_u32_e32 vcc_lo, 0, v2
	s_cbranch_vccnz .LBB2_66
; %bb.65:                               ;   in Loop: Header=BB2_22 Depth=2
	global_store_dword v1, v51, s[78:79]
.LBB2_66:                               ;   in Loop: Header=BB2_22 Depth=2
	s_or_b32 exec_lo, exec_lo, s9
	v_add_f64 v[27:28], v[25:26], -v[27:28]
	s_mov_b32 s91, 0
	s_mov_b32 s92, 0
	v_cmp_gt_f64_e64 s90, |v[27:28]|, v[17:18]
.LBB2_67:                               ;   Parent Loop BB2_12 Depth=1
                                        ;     Parent Loop BB2_22 Depth=2
                                        ; =>    This Loop Header: Depth=3
                                        ;         Child Loop BB2_69 Depth 4
                                        ;         Child Loop BB2_108 Depth 4
	;; [unrolled: 1-line block ×5, first 2 shown]
                                        ;           Child Loop BB2_127 Depth 5
                                        ;         Child Loop BB2_141 Depth 4
                                        ;           Child Loop BB2_142 Depth 5
                                        ;           Child Loop BB2_144 Depth 5
                                        ;         Child Loop BB2_149 Depth 4
	v_mov_b32_e32 v27, 0
	v_mov_b32_e32 v28, 0
	v_bfrev_b32_e32 v2, -2
	s_and_saveexec_b32 s10, s7
	s_cbranch_execz .LBB2_71
; %bb.68:                               ;   in Loop: Header=BB2_67 Depth=3
	v_mov_b32_e32 v27, 0
	v_mov_b32_e32 v30, v6
	v_bfrev_b32_e32 v2, -2
	v_mov_b32_e32 v31, v0
	v_mov_b32_e32 v28, 0
	;; [unrolled: 1-line block ×3, first 2 shown]
	s_mov_b32 s48, 0
	.p2align	6
.LBB2_69:                               ;   Parent Loop BB2_12 Depth=1
                                        ;     Parent Loop BB2_22 Depth=2
                                        ;       Parent Loop BB2_67 Depth=3
                                        ; =>      This Inner Loop Header: Depth=4
	global_load_dwordx2 v[32:33], v[29:30], off
	v_cmp_eq_u32_e32 vcc_lo, 0x7fffffff, v2
	v_add_nc_u32_e32 v34, 1, v31
	v_add_nc_u32_e32 v31, 0x100, v31
	v_add_co_u32 v29, s9, 0x800, v29
	v_add_co_ci_u32_e64 v30, null, 0, v30, s9
	v_cmp_ge_u32_e64 s9, v31, v51
	s_waitcnt vmcnt(0)
	v_cmp_lt_f64_e64 s49, v[27:28], |v[32:33]|
	v_and_b32_e32 v33, 0x7fffffff, v33
	s_or_b32 vcc_lo, s49, vcc_lo
	s_or_b32 s48, s9, s48
	v_cndmask_b32_e32 v27, v27, v32, vcc_lo
	v_cndmask_b32_e32 v28, v28, v33, vcc_lo
	;; [unrolled: 1-line block ×3, first 2 shown]
	s_andn2_b32 exec_lo, exec_lo, s48
	s_cbranch_execnz .LBB2_69
; %bb.70:                               ;   in Loop: Header=BB2_67 Depth=3
	s_or_b32 exec_lo, exec_lo, s48
.LBB2_71:                               ;   in Loop: Header=BB2_67 Depth=3
	s_or_b32 exec_lo, exec_lo, s10
	ds_write_b64 v46, v[27:28]
	ds_write_b32 v47, v2 offset:4096
	s_waitcnt lgkmcnt(0)
	s_waitcnt_vscnt null, 0x0
	s_barrier
	buffer_gl0_inv
	s_and_saveexec_b32 s10, s1
	s_cbranch_execz .LBB2_77
; %bb.72:                               ;   in Loop: Header=BB2_67 Depth=3
	ds_read_b64 v[29:30], v46 offset:1024
	ds_read_b32 v31, v47 offset:4608
	s_mov_b32 s49, exec_lo
	s_waitcnt lgkmcnt(1)
	v_cmp_lt_f64_e64 s48, v[27:28], v[29:30]
	v_cmpx_nlt_f64_e32 v[27:28], v[29:30]
	s_cbranch_execz .LBB2_74
; %bb.73:                               ;   in Loop: Header=BB2_67 Depth=3
	v_cmp_eq_f64_e32 vcc_lo, v[27:28], v[29:30]
	s_waitcnt lgkmcnt(0)
	v_cmp_gt_i32_e64 s9, v2, v31
	s_andn2_b32 s48, s48, exec_lo
	s_and_b32 s9, vcc_lo, s9
	s_and_b32 s9, s9, exec_lo
	s_or_b32 s48, s48, s9
.LBB2_74:                               ;   in Loop: Header=BB2_67 Depth=3
	s_or_b32 exec_lo, exec_lo, s49
	s_and_saveexec_b32 s9, s48
	s_cbranch_execz .LBB2_76
; %bb.75:                               ;   in Loop: Header=BB2_67 Depth=3
	v_mov_b32_e32 v27, v29
	s_waitcnt lgkmcnt(0)
	v_mov_b32_e32 v2, v31
	v_mov_b32_e32 v28, v30
	ds_write_b32 v47, v31 offset:4096
	ds_write_b64 v46, v[29:30]
.LBB2_76:                               ;   in Loop: Header=BB2_67 Depth=3
	s_or_b32 exec_lo, exec_lo, s9
.LBB2_77:                               ;   in Loop: Header=BB2_67 Depth=3
	s_or_b32 exec_lo, exec_lo, s10
	s_waitcnt lgkmcnt(0)
	s_barrier
	buffer_gl0_inv
	s_and_saveexec_b32 s10, s2
	s_cbranch_execz .LBB2_83
; %bb.78:                               ;   in Loop: Header=BB2_67 Depth=3
	ds_read_b64 v[29:30], v46 offset:512
	ds_read_b32 v31, v47 offset:4352
	s_mov_b32 s49, exec_lo
	s_waitcnt lgkmcnt(1)
	v_cmp_lt_f64_e64 s48, v[27:28], v[29:30]
	v_cmpx_nlt_f64_e32 v[27:28], v[29:30]
	s_cbranch_execz .LBB2_80
; %bb.79:                               ;   in Loop: Header=BB2_67 Depth=3
	v_cmp_eq_f64_e32 vcc_lo, v[27:28], v[29:30]
	s_waitcnt lgkmcnt(0)
	v_cmp_gt_i32_e64 s9, v2, v31
	s_andn2_b32 s48, s48, exec_lo
	s_and_b32 s9, vcc_lo, s9
	s_and_b32 s9, s9, exec_lo
	s_or_b32 s48, s48, s9
.LBB2_80:                               ;   in Loop: Header=BB2_67 Depth=3
	s_or_b32 exec_lo, exec_lo, s49
	s_and_saveexec_b32 s9, s48
	s_cbranch_execz .LBB2_82
; %bb.81:                               ;   in Loop: Header=BB2_67 Depth=3
	v_mov_b32_e32 v27, v29
	s_waitcnt lgkmcnt(0)
	v_mov_b32_e32 v2, v31
	v_mov_b32_e32 v28, v30
	ds_write_b32 v47, v31 offset:4096
	ds_write_b64 v46, v[29:30]
.LBB2_82:                               ;   in Loop: Header=BB2_67 Depth=3
	s_or_b32 exec_lo, exec_lo, s9
.LBB2_83:                               ;   in Loop: Header=BB2_67 Depth=3
	s_or_b32 exec_lo, exec_lo, s10
	s_waitcnt lgkmcnt(0)
	s_barrier
	buffer_gl0_inv
	s_and_saveexec_b32 s84, s3
	s_cbranch_execz .LBB2_106
; %bb.84:                               ;   in Loop: Header=BB2_67 Depth=3
	ds_read_b64 v[29:30], v46 offset:256
	ds_read_b32 v31, v47 offset:4224
	s_mov_b32 s48, exec_lo
	s_waitcnt lgkmcnt(1)
	v_cmp_lt_f64_e64 s10, v[27:28], v[29:30]
	v_cmpx_nlt_f64_e32 v[27:28], v[29:30]
	s_cbranch_execz .LBB2_86
; %bb.85:                               ;   in Loop: Header=BB2_67 Depth=3
	v_cmp_eq_f64_e32 vcc_lo, v[27:28], v[29:30]
	s_waitcnt lgkmcnt(0)
	v_cmp_gt_i32_e64 s9, v2, v31
	s_andn2_b32 s10, s10, exec_lo
	s_and_b32 s9, vcc_lo, s9
	s_and_b32 s9, s9, exec_lo
	s_or_b32 s10, s10, s9
.LBB2_86:                               ;   in Loop: Header=BB2_67 Depth=3
	s_or_b32 exec_lo, exec_lo, s48
	s_and_saveexec_b32 s9, s10
	s_cbranch_execz .LBB2_88
; %bb.87:                               ;   in Loop: Header=BB2_67 Depth=3
	v_mov_b32_e32 v27, v29
	v_mov_b32_e32 v28, v30
	s_waitcnt lgkmcnt(0)
	v_mov_b32_e32 v2, v31
	ds_write_b64 v46, v[29:30]
	ds_write_b32 v47, v31 offset:4096
.LBB2_88:                               ;   in Loop: Header=BB2_67 Depth=3
	s_or_b32 exec_lo, exec_lo, s9
	ds_read_b64 v[29:30], v46 offset:128
	s_waitcnt lgkmcnt(1)
	ds_read_b32 v31, v47 offset:4160
	s_mov_b32 s48, exec_lo
	s_waitcnt lgkmcnt(1)
	v_cmp_lt_f64_e64 s10, v[27:28], v[29:30]
	v_cmpx_nlt_f64_e32 v[27:28], v[29:30]
	s_cbranch_execz .LBB2_90
; %bb.89:                               ;   in Loop: Header=BB2_67 Depth=3
	v_cmp_eq_f64_e32 vcc_lo, v[27:28], v[29:30]
	s_waitcnt lgkmcnt(0)
	v_cmp_gt_i32_e64 s9, v2, v31
	s_andn2_b32 s10, s10, exec_lo
	s_and_b32 s9, vcc_lo, s9
	s_and_b32 s9, s9, exec_lo
	s_or_b32 s10, s10, s9
.LBB2_90:                               ;   in Loop: Header=BB2_67 Depth=3
	s_or_b32 exec_lo, exec_lo, s48
	s_and_saveexec_b32 s9, s10
	s_cbranch_execz .LBB2_92
; %bb.91:                               ;   in Loop: Header=BB2_67 Depth=3
	v_mov_b32_e32 v27, v29
	v_mov_b32_e32 v28, v30
	s_waitcnt lgkmcnt(0)
	v_mov_b32_e32 v2, v31
	ds_write_b64 v46, v[29:30]
	ds_write_b32 v47, v31 offset:4096
.LBB2_92:                               ;   in Loop: Header=BB2_67 Depth=3
	s_or_b32 exec_lo, exec_lo, s9
	ds_read_b64 v[29:30], v46 offset:64
	s_waitcnt lgkmcnt(1)
	;; [unrolled: 29-line block ×3, first 2 shown]
	ds_read_b32 v31, v47 offset:4112
	s_mov_b32 s48, exec_lo
	s_waitcnt lgkmcnt(1)
	v_cmp_lt_f64_e64 s10, v[27:28], v[29:30]
	v_cmpx_nlt_f64_e32 v[27:28], v[29:30]
	s_cbranch_execz .LBB2_98
; %bb.97:                               ;   in Loop: Header=BB2_67 Depth=3
	v_cmp_eq_f64_e32 vcc_lo, v[27:28], v[29:30]
	s_waitcnt lgkmcnt(0)
	v_cmp_gt_i32_e64 s9, v2, v31
	s_andn2_b32 s10, s10, exec_lo
	s_and_b32 s9, vcc_lo, s9
	s_and_b32 s9, s9, exec_lo
	s_or_b32 s10, s10, s9
.LBB2_98:                               ;   in Loop: Header=BB2_67 Depth=3
	s_or_b32 exec_lo, exec_lo, s48
	s_and_saveexec_b32 s9, s10
	s_cbranch_execz .LBB2_100
; %bb.99:                               ;   in Loop: Header=BB2_67 Depth=3
	v_mov_b32_e32 v27, v29
	v_mov_b32_e32 v28, v30
	s_waitcnt lgkmcnt(0)
	v_mov_b32_e32 v2, v31
	ds_write_b64 v46, v[29:30]
	ds_write_b32 v47, v31 offset:4096
.LBB2_100:                              ;   in Loop: Header=BB2_67 Depth=3
	s_or_b32 exec_lo, exec_lo, s9
	ds_read_b64 v[29:30], v46 offset:16
	s_waitcnt lgkmcnt(1)
	ds_read_b32 v31, v47 offset:4104
	s_mov_b32 s48, exec_lo
	s_waitcnt lgkmcnt(1)
	v_cmp_lt_f64_e64 s10, v[27:28], v[29:30]
	v_cmpx_nlt_f64_e32 v[27:28], v[29:30]
	s_cbranch_execz .LBB2_102
; %bb.101:                              ;   in Loop: Header=BB2_67 Depth=3
	v_cmp_eq_f64_e32 vcc_lo, v[27:28], v[29:30]
	s_waitcnt lgkmcnt(0)
	v_cmp_gt_i32_e64 s9, v2, v31
	s_andn2_b32 s10, s10, exec_lo
	s_and_b32 s9, vcc_lo, s9
	s_and_b32 s9, s9, exec_lo
	s_or_b32 s10, s10, s9
.LBB2_102:                              ;   in Loop: Header=BB2_67 Depth=3
	s_or_b32 exec_lo, exec_lo, s48
	s_and_saveexec_b32 s9, s10
	s_cbranch_execz .LBB2_104
; %bb.103:                              ;   in Loop: Header=BB2_67 Depth=3
	v_mov_b32_e32 v27, v29
	v_mov_b32_e32 v28, v30
	s_waitcnt lgkmcnt(0)
	v_mov_b32_e32 v2, v31
	ds_write_b64 v46, v[29:30]
	ds_write_b32 v47, v31 offset:4096
.LBB2_104:                              ;   in Loop: Header=BB2_67 Depth=3
	s_or_b32 exec_lo, exec_lo, s9
	ds_read_b64 v[29:30], v46 offset:8
	s_waitcnt lgkmcnt(1)
	ds_read_b32 v31, v47 offset:4100
	s_waitcnt lgkmcnt(1)
	v_cmp_eq_f64_e32 vcc_lo, v[27:28], v[29:30]
	v_cmp_lt_f64_e64 s9, v[27:28], v[29:30]
	s_waitcnt lgkmcnt(0)
	v_cmp_gt_i32_e64 s10, v2, v31
	s_and_b32 s10, vcc_lo, s10
	s_or_b32 s9, s9, s10
	s_and_b32 exec_lo, exec_lo, s9
	s_cbranch_execz .LBB2_106
; %bb.105:                              ;   in Loop: Header=BB2_67 Depth=3
	ds_write_b64 v46, v[29:30]
	ds_write_b32 v47, v31 offset:4096
.LBB2_106:                              ;   in Loop: Header=BB2_67 Depth=3
	s_or_b32 exec_lo, exec_lo, s84
	s_waitcnt lgkmcnt(0)
	s_barrier
	buffer_gl0_inv
	s_and_saveexec_b32 s10, s5
	s_cbranch_execz .LBB2_109
; %bb.107:                              ;   in Loop: Header=BB2_67 Depth=3
	global_load_dwordx2 v[27:28], v1, s[76:77]
	ds_read_b64 v[29:30], v50
	s_mov_b32 s48, 0
	s_waitcnt vmcnt(0)
	v_cmp_lt_f64_e64 vcc_lo, s[20:21], |v[27:28]|
	v_and_b32_e32 v2, 0x7fffffff, v28
	v_cndmask_b32_e32 v27, s20, v27, vcc_lo
	v_cndmask_b32_e32 v28, s21, v2, vcc_lo
	v_mov_b32_e32 v2, v0
	v_mul_f64 v[27:28], v[19:20], v[27:28]
	s_waitcnt lgkmcnt(0)
	v_div_scale_f64 v[31:32], null, v[29:30], v[29:30], v[27:28]
	v_rcp_f64_e32 v[33:34], v[31:32]
	v_fma_f64 v[35:36], -v[31:32], v[33:34], 1.0
	v_fma_f64 v[33:34], v[33:34], v[35:36], v[33:34]
	v_fma_f64 v[35:36], -v[31:32], v[33:34], 1.0
	v_fma_f64 v[33:34], v[33:34], v[35:36], v[33:34]
	v_div_scale_f64 v[35:36], vcc_lo, v[27:28], v[29:30], v[27:28]
	v_mul_f64 v[37:38], v[35:36], v[33:34]
	v_fma_f64 v[31:32], -v[31:32], v[37:38], v[35:36]
	v_div_fmas_f64 v[31:32], v[31:32], v[33:34], v[37:38]
	v_div_fixup_f64 v[27:28], v[31:32], v[29:30], v[27:28]
	v_mov_b32_e32 v30, v6
	v_mov_b32_e32 v29, v5
	.p2align	6
.LBB2_108:                              ;   Parent Loop BB2_12 Depth=1
                                        ;     Parent Loop BB2_22 Depth=2
                                        ;       Parent Loop BB2_67 Depth=3
                                        ; =>      This Inner Loop Header: Depth=4
	global_load_dwordx2 v[31:32], v[29:30], off
	v_add_nc_u32_e32 v2, 0x100, v2
	v_cmp_lt_i32_e32 vcc_lo, s72, v2
	s_or_b32 s48, vcc_lo, s48
	s_waitcnt vmcnt(0)
	v_mul_f64 v[31:32], v[27:28], v[31:32]
	global_store_dwordx2 v[29:30], v[31:32], off
	v_add_co_u32 v29, s9, 0x800, v29
	v_add_co_ci_u32_e64 v30, null, 0, v30, s9
	s_andn2_b32 exec_lo, exec_lo, s48
	s_cbranch_execnz .LBB2_108
.LBB2_109:                              ;   in Loop: Header=BB2_67 Depth=3
	s_or_b32 exec_lo, exec_lo, s10
	s_waitcnt_vscnt null, 0x0
	s_barrier
	buffer_gl0_inv
	s_and_saveexec_b32 s93, s0
	s_cbranch_execz .LBB2_137
; %bb.110:                              ;   in Loop: Header=BB2_67 Depth=3
	s_clause 0x1
	global_load_dwordx2 v[31:32], v1, s[38:39] offset:8
	global_load_dwordx4 v[27:30], v1, s[30:31]
	s_andn2_b32 vcc_lo, exec_lo, s8
	s_mov_b64 s[84:85], s[42:43]
	s_mov_b64 s[86:87], s[56:57]
	s_mov_b32 s9, s71
	s_waitcnt vmcnt(1)
	v_max_f64 v[31:32], |v[31:32]|, |v[31:32]|
	s_waitcnt vmcnt(0)
	v_max_f64 v[29:30], |v[29:30]|, |v[29:30]|
	v_max_f64 v[27:28], |v[27:28]|, |v[27:28]|
	v_max_f64 v[29:30], v[29:30], v[31:32]
	v_max_f64 v[27:28], v[27:28], v[29:30]
	s_cbranch_vccnz .LBB2_112
	.p2align	6
.LBB2_111:                              ;   Parent Loop BB2_12 Depth=1
                                        ;     Parent Loop BB2_22 Depth=2
                                        ;       Parent Loop BB2_67 Depth=3
                                        ; =>      This Inner Loop Header: Depth=4
	s_add_u32 s48, s86, s27
	s_addc_u32 s49, s87, s62
	s_clause 0x2
	global_load_dwordx2 v[29:30], v1, s[86:87]
	global_load_dwordx2 v[31:32], v1, s[84:85]
	;; [unrolled: 1-line block ×3, first 2 shown]
	v_max_f64 v[27:28], v[27:28], v[27:28]
	s_add_i32 s9, s9, -1
	s_add_u32 s86, s86, 8
	s_addc_u32 s87, s87, 0
	s_add_u32 s84, s84, 8
	s_addc_u32 s85, s85, 0
	s_cmp_lg_u32 s9, 0
	s_waitcnt vmcnt(2)
	v_max_f64 v[29:30], |v[29:30]|, |v[29:30]|
	s_waitcnt vmcnt(1)
	v_max_f64 v[31:32], |v[31:32]|, |v[31:32]|
	;; [unrolled: 2-line block ×3, first 2 shown]
	v_max_f64 v[27:28], v[27:28], v[29:30]
	v_max_f64 v[29:30], v[33:34], v[31:32]
	;; [unrolled: 1-line block ×3, first 2 shown]
	s_cbranch_scc1 .LBB2_111
.LBB2_112:                              ;   in Loop: Header=BB2_67 Depth=3
	s_mov_b32 s9, s72
	s_mov_b64 s[84:85], s[18:19]
	s_mov_b64 s[86:87], s[40:41]
	;; [unrolled: 1-line block ×3, first 2 shown]
	s_inst_prefetch 0x1
	s_branch .LBB2_114
	.p2align	6
.LBB2_113:                              ;   in Loop: Header=BB2_114 Depth=4
	s_add_u32 s88, s88, 8
	s_addc_u32 s89, s89, 0
	s_add_u32 s86, s86, 8
	s_addc_u32 s87, s87, 0
	;; [unrolled: 2-line block ×3, first 2 shown]
	s_add_i32 s9, s9, -1
	s_cmp_lg_u32 s9, 0
	s_cbranch_scc0 .LBB2_118
.LBB2_114:                              ;   Parent Loop BB2_12 Depth=1
                                        ;     Parent Loop BB2_22 Depth=2
                                        ;       Parent Loop BB2_67 Depth=3
                                        ; =>      This Inner Loop Header: Depth=4
	global_load_dword v2, v1, s[84:85]
	s_waitcnt vmcnt(0)
	v_cmp_ne_u32_e32 vcc_lo, 0, v2
	s_cbranch_vccz .LBB2_116
; %bb.115:                              ;   in Loop: Header=BB2_114 Depth=4
	global_load_dwordx4 v[29:32], v1, s[88:89] offset:-8
	s_waitcnt vmcnt(0)
	global_store_dwordx2 v1, v[31:32], s[88:89] offset:-8
	global_load_dwordx2 v[33:34], v1, s[86:87]
	s_waitcnt vmcnt(0)
	v_fma_f64 v[29:30], -v[31:32], v[33:34], v[29:30]
	global_store_dwordx2 v1, v[29:30], s[88:89]
	s_cbranch_execnz .LBB2_113
	s_branch .LBB2_117
	.p2align	6
.LBB2_116:                              ;   in Loop: Header=BB2_114 Depth=4
.LBB2_117:                              ;   in Loop: Header=BB2_114 Depth=4
	s_clause 0x1
	global_load_dwordx2 v[33:34], v1, s[86:87]
	global_load_dwordx4 v[29:32], v1, s[88:89] offset:-8
	s_waitcnt vmcnt(0)
	v_fma_f64 v[29:30], -v[33:34], v[29:30], v[31:32]
	global_store_dwordx2 v1, v[29:30], s[88:89]
	s_branch .LBB2_113
.LBB2_118:                              ;   in Loop: Header=BB2_67 Depth=3
	s_inst_prefetch 0x2
	v_mul_f64 v[27:28], s[20:21], v[27:28]
	v_cmp_eq_f64_e32 vcc_lo, 0, v[27:28]
	v_readfirstlane_b32 s9, v28
	v_readfirstlane_b32 s10, v27
	s_and_b32 s48, vcc_lo, exec_lo
	s_cselect_b32 s48, s21, s9
	s_cselect_b32 s49, s20, s10
	s_and_b32 s88, s48, 0x7fffffff
	s_mov_b32 s89, s49
	s_mov_b32 s10, s72
	s_branch .LBB2_121
.LBB2_119:                              ;   in Loop: Header=BB2_121 Depth=4
	v_mov_b32_e32 v29, v37
	v_mov_b32_e32 v30, v38
.LBB2_120:                              ;   in Loop: Header=BB2_121 Depth=4
	v_div_scale_f64 v[31:32], null, v[29:30], v[29:30], v[27:28]
	s_add_i32 s9, s10, -1
	s_cmp_gt_i32 s10, 0
	s_mov_b32 s10, s9
	v_rcp_f64_e32 v[33:34], v[31:32]
	v_fma_f64 v[35:36], -v[31:32], v[33:34], 1.0
	v_fma_f64 v[33:34], v[33:34], v[35:36], v[33:34]
	v_fma_f64 v[35:36], -v[31:32], v[33:34], 1.0
	v_fma_f64 v[33:34], v[33:34], v[35:36], v[33:34]
	v_div_scale_f64 v[35:36], vcc_lo, v[27:28], v[29:30], v[27:28]
	v_mul_f64 v[37:38], v[35:36], v[33:34]
	v_fma_f64 v[31:32], -v[31:32], v[37:38], v[35:36]
	v_div_fmas_f64 v[31:32], v[31:32], v[33:34], v[37:38]
	v_div_fixup_f64 v[27:28], v[31:32], v[29:30], v[27:28]
	global_store_dwordx2 v1, v[27:28], s[84:85]
	s_cbranch_scc0 .LBB2_137
.LBB2_121:                              ;   Parent Loop BB2_12 Depth=1
                                        ;     Parent Loop BB2_22 Depth=2
                                        ;       Parent Loop BB2_67 Depth=3
                                        ; =>      This Loop Header: Depth=4
                                        ;           Child Loop BB2_127 Depth 5
	s_lshl_b64 s[86:87], s[10:11], 3
	s_add_u32 s84, s36, s86
	s_addc_u32 s85, s37, s87
	s_cmp_ge_i32 s10, s72
	global_load_dwordx2 v[27:28], v1, s[84:85]
	s_cbranch_scc1 .LBB2_123
; %bb.122:                              ;   in Loop: Header=BB2_121 Depth=4
	s_add_u32 s94, s38, s86
	s_addc_u32 s95, s39, s87
	s_clause 0x1
	global_load_dwordx2 v[29:30], v1, s[94:95] offset:8
	global_load_dwordx2 v[31:32], v1, s[84:85] offset:8
	s_waitcnt vmcnt(0)
	v_fma_f64 v[27:28], -v[29:30], v[31:32], v[27:28]
.LBB2_123:                              ;   in Loop: Header=BB2_121 Depth=4
	s_cmp_ge_i32 s10, s71
	s_cbranch_scc1 .LBB2_125
; %bb.124:                              ;   in Loop: Header=BB2_121 Depth=4
	s_add_u32 s94, s42, s86
	s_addc_u32 s95, s43, s87
	s_clause 0x1
	global_load_dwordx2 v[29:30], v1, s[94:95]
	global_load_dwordx2 v[31:32], v1, s[84:85] offset:16
	s_waitcnt vmcnt(0)
	v_fma_f64 v[27:28], -v[29:30], v[31:32], v[27:28]
.LBB2_125:                              ;   in Loop: Header=BB2_121 Depth=4
	s_add_u32 s86, s30, s86
	s_addc_u32 s87, s31, s87
	global_load_dwordx2 v[29:30], v1, s[86:87]
	s_waitcnt vmcnt(0)
	v_cmp_nlt_f64_e64 s9, |v[29:30]|, 1.0
	s_and_b32 vcc_lo, exec_lo, s9
	s_cbranch_vccnz .LBB2_120
; %bb.126:                              ;   in Loop: Header=BB2_121 Depth=4
	v_cmp_nle_f64_e32 vcc_lo, 0, v[29:30]
	v_mul_f64 v[31:32], s[22:23], |v[27:28]|
	s_xor_b32 s9, s88, 0x80000000
	s_and_b32 s86, s48, 0x7fffffff
	v_and_b32_e32 v36, 0x7fffffff, v30
	v_mov_b32_e32 v35, v29
	s_and_b32 s87, vcc_lo, exec_lo
	s_cselect_b32 s87, s9, s86
	s_cselect_b32 s86, s89, s49
	v_mov_b32_e32 v33, s86
	v_mov_b32_e32 v34, s87
	.p2align	6
.LBB2_127:                              ;   Parent Loop BB2_12 Depth=1
                                        ;     Parent Loop BB2_22 Depth=2
                                        ;       Parent Loop BB2_67 Depth=3
                                        ;         Parent Loop BB2_121 Depth=4
                                        ; =>        This Inner Loop Header: Depth=5
	v_cmp_ngt_f64_e32 vcc_lo, s[22:23], v[35:36]
	s_mov_b32 s9, -1
	s_mov_b32 s86, 0
	s_mov_b32 s87, -1
	s_cbranch_vccnz .LBB2_131
; %bb.128:                              ;   in Loop: Header=BB2_127 Depth=5
	s_andn2_b32 vcc_lo, exec_lo, s87
	s_cbranch_vccz .LBB2_132
.LBB2_129:                              ;   in Loop: Header=BB2_127 Depth=5
	s_andn2_b32 vcc_lo, exec_lo, s86
	s_cbranch_vccnz .LBB2_133
.LBB2_130:                              ;   in Loop: Header=BB2_127 Depth=5
	v_add_f64 v[37:38], v[29:30], v[33:34]
	v_add_f64 v[33:34], v[33:34], v[33:34]
	s_mov_b32 s9, -1
	v_cmp_nlt_f64_e64 s86, |v[37:38]|, 1.0
	v_and_b32_e32 v36, 0x7fffffff, v38
	v_mov_b32_e32 v35, v37
	s_andn2_b32 vcc_lo, exec_lo, s86
	s_cbranch_vccnz .LBB2_134
	s_branch .LBB2_135
	.p2align	6
.LBB2_131:                              ;   in Loop: Header=BB2_127 Depth=5
	v_mul_f64 v[37:38], v[11:12], v[35:36]
	v_cmp_gt_f64_e64 s86, |v[27:28]|, v[37:38]
	s_cbranch_execnz .LBB2_129
.LBB2_132:                              ;   in Loop: Header=BB2_127 Depth=5
	v_cmp_gt_f64_e32 vcc_lo, v[31:32], v[35:36]
	v_cmp_eq_f64_e64 s9, 0, v[29:30]
	s_or_b32 s86, s9, vcc_lo
	s_mov_b32 s9, 0
	s_andn2_b32 vcc_lo, exec_lo, s86
	s_cbranch_vccz .LBB2_130
.LBB2_133:                              ;   in Loop: Header=BB2_121 Depth=4
	v_mov_b32_e32 v38, v30
	v_mov_b32_e32 v37, v29
                                        ; implicit-def: $vgpr33_vgpr34
                                        ; implicit-def: $vgpr35_vgpr36
	s_branch .LBB2_135
.LBB2_134:                              ;   in Loop: Header=BB2_127 Depth=5
	v_mov_b32_e32 v29, v37
	v_mov_b32_e32 v30, v38
	s_branch .LBB2_127
.LBB2_135:                              ;   in Loop: Header=BB2_121 Depth=4
	s_andn2_b32 vcc_lo, exec_lo, s9
	s_cbranch_vccz .LBB2_119
; %bb.136:                              ;   in Loop: Header=BB2_121 Depth=4
	v_mul_f64 v[27:28], v[11:12], v[27:28]
	v_mul_f64 v[37:38], v[11:12], v[29:30]
	s_branch .LBB2_119
.LBB2_137:                              ;   in Loop: Header=BB2_67 Depth=3
	s_or_b32 exec_lo, exec_lo, s93
	s_andn2_b32 vcc_lo, exec_lo, s83
	s_waitcnt_vscnt null, 0x0
	s_barrier
	buffer_gl0_inv
	s_cbranch_vccnz .LBB2_147
; %bb.138:                              ;   in Loop: Header=BB2_67 Depth=3
	s_and_b32 s9, s90, exec_lo
	s_cselect_b32 s9, s82, s69
	s_mov_b32 s69, s82
	s_cmp_eq_u32 s9, s82
	s_cbranch_scc1 .LBB2_147
; %bb.139:                              ;   in Loop: Header=BB2_67 Depth=3
	s_cmp_lt_i32 s9, s82
	s_cselect_b32 s10, -1, 0
	s_and_b32 s48, s0, s10
	s_and_saveexec_b32 s10, s48
	s_cbranch_execz .LBB2_146
; %bb.140:                              ;   in Loop: Header=BB2_67 Depth=3
	s_mul_i32 s48, s29, s9
	s_mov_b32 s49, s9
	s_add_i32 s48, s68, s48
	s_inst_prefetch 0x1
	.p2align	6
.LBB2_141:                              ;   Parent Loop BB2_12 Depth=1
                                        ;     Parent Loop BB2_22 Depth=2
                                        ;       Parent Loop BB2_67 Depth=3
                                        ; =>      This Loop Header: Depth=4
                                        ;           Child Loop BB2_142 Depth 5
                                        ;           Child Loop BB2_144 Depth 5
	v_mov_b32_e32 v27, 0
	v_mov_b32_e32 v28, 0
	s_mov_b64 s[84:85], s[36:37]
	s_mov_b32 s86, s48
	s_mov_b32 s69, s73
.LBB2_142:                              ;   Parent Loop BB2_12 Depth=1
                                        ;     Parent Loop BB2_22 Depth=2
                                        ;       Parent Loop BB2_67 Depth=3
                                        ;         Parent Loop BB2_141 Depth=4
                                        ; =>        This Inner Loop Header: Depth=5
	s_ashr_i32 s87, s86, 31
	s_lshl_b64 s[88:89], s[86:87], 3
	s_add_u32 s88, s28, s88
	s_addc_u32 s89, s26, s89
	s_clause 0x1
	global_load_dwordx2 v[29:30], v1, s[84:85]
	global_load_dwordx2 v[31:32], v1, s[88:89]
	s_add_i32 s69, s69, -1
	s_add_i32 s86, s86, 1
	s_add_u32 s84, s84, 8
	s_addc_u32 s85, s85, 0
	s_cmp_lg_u32 s69, 0
	s_waitcnt vmcnt(0)
	v_fma_f64 v[27:28], v[29:30], v[31:32], v[27:28]
	s_cbranch_scc1 .LBB2_142
; %bb.143:                              ;   in Loop: Header=BB2_141 Depth=4
	s_mov_b32 s69, 0
	s_mov_b64 s[84:85], s[36:37]
	.p2align	6
.LBB2_144:                              ;   Parent Loop BB2_12 Depth=1
                                        ;     Parent Loop BB2_22 Depth=2
                                        ;       Parent Loop BB2_67 Depth=3
                                        ;         Parent Loop BB2_141 Depth=4
                                        ; =>        This Inner Loop Header: Depth=5
	s_add_i32 s86, s48, s69
	global_load_dwordx2 v[29:30], v1, s[84:85]
	s_ashr_i32 s87, s86, 31
	s_lshl_b64 s[86:87], s[86:87], 3
	s_add_u32 s86, s28, s86
	s_addc_u32 s87, s26, s87
	s_add_i32 s69, s69, 1
	global_load_dwordx2 v[31:32], v1, s[86:87]
	s_waitcnt vmcnt(0)
	v_fma_f64 v[29:30], -v[27:28], v[31:32], v[29:30]
	global_store_dwordx2 v1, v[29:30], s[84:85]
	s_add_u32 s84, s84, 8
	s_addc_u32 s85, s85, 0
	s_cmp_lg_u32 s73, s69
	s_cbranch_scc1 .LBB2_144
; %bb.145:                              ;   in Loop: Header=BB2_141 Depth=4
	s_add_i32 s49, s49, 1
	s_add_i32 s48, s48, s29
	s_cmp_lt_i32 s49, s82
	s_cbranch_scc1 .LBB2_141
.LBB2_146:                              ;   in Loop: Header=BB2_67 Depth=3
	s_inst_prefetch 0x2
	s_or_b32 exec_lo, exec_lo, s10
	s_mov_b32 s69, s9
	s_waitcnt_vscnt null, 0x0
	s_barrier
	buffer_gl0_inv
.LBB2_147:                              ;   in Loop: Header=BB2_67 Depth=3
	v_mov_b32_e32 v27, 0
	v_mov_b32_e32 v28, 0
	v_bfrev_b32_e32 v2, -2
	s_and_saveexec_b32 s10, s7
	s_cbranch_execz .LBB2_151
; %bb.148:                              ;   in Loop: Header=BB2_67 Depth=3
	v_mov_b32_e32 v27, 0
	v_mov_b32_e32 v30, v6
	v_bfrev_b32_e32 v2, -2
	v_mov_b32_e32 v31, v0
	v_mov_b32_e32 v28, 0
	;; [unrolled: 1-line block ×3, first 2 shown]
	s_mov_b32 s48, 0
	.p2align	6
.LBB2_149:                              ;   Parent Loop BB2_12 Depth=1
                                        ;     Parent Loop BB2_22 Depth=2
                                        ;       Parent Loop BB2_67 Depth=3
                                        ; =>      This Inner Loop Header: Depth=4
	global_load_dwordx2 v[32:33], v[29:30], off
	v_cmp_eq_u32_e32 vcc_lo, 0x7fffffff, v2
	v_add_nc_u32_e32 v34, 1, v31
	v_add_nc_u32_e32 v31, 0x100, v31
	v_add_co_u32 v29, s9, 0x800, v29
	v_add_co_ci_u32_e64 v30, null, 0, v30, s9
	v_cmp_ge_u32_e64 s9, v31, v51
	s_waitcnt vmcnt(0)
	v_cmp_lt_f64_e64 s49, v[27:28], |v[32:33]|
	v_and_b32_e32 v33, 0x7fffffff, v33
	s_or_b32 vcc_lo, s49, vcc_lo
	s_or_b32 s48, s9, s48
	v_cndmask_b32_e32 v27, v27, v32, vcc_lo
	v_cndmask_b32_e32 v28, v28, v33, vcc_lo
	;; [unrolled: 1-line block ×3, first 2 shown]
	s_andn2_b32 exec_lo, exec_lo, s48
	s_cbranch_execnz .LBB2_149
; %bb.150:                              ;   in Loop: Header=BB2_67 Depth=3
	s_or_b32 exec_lo, exec_lo, s48
.LBB2_151:                              ;   in Loop: Header=BB2_67 Depth=3
	s_or_b32 exec_lo, exec_lo, s10
	ds_write_b64 v46, v[27:28]
	ds_write_b32 v47, v2 offset:4096
	s_waitcnt lgkmcnt(0)
	s_barrier
	buffer_gl0_inv
	s_and_saveexec_b32 s10, s1
	s_cbranch_execz .LBB2_157
; %bb.152:                              ;   in Loop: Header=BB2_67 Depth=3
	ds_read_b64 v[29:30], v46 offset:1024
	ds_read_b32 v31, v47 offset:4608
	s_mov_b32 s49, exec_lo
	s_waitcnt lgkmcnt(1)
	v_cmp_lt_f64_e64 s48, v[27:28], v[29:30]
	v_cmpx_nlt_f64_e32 v[27:28], v[29:30]
	s_cbranch_execz .LBB2_154
; %bb.153:                              ;   in Loop: Header=BB2_67 Depth=3
	v_cmp_eq_f64_e32 vcc_lo, v[27:28], v[29:30]
	s_waitcnt lgkmcnt(0)
	v_cmp_gt_i32_e64 s9, v2, v31
	s_andn2_b32 s48, s48, exec_lo
	s_and_b32 s9, vcc_lo, s9
	s_and_b32 s9, s9, exec_lo
	s_or_b32 s48, s48, s9
.LBB2_154:                              ;   in Loop: Header=BB2_67 Depth=3
	s_or_b32 exec_lo, exec_lo, s49
	s_and_saveexec_b32 s9, s48
	s_cbranch_execz .LBB2_156
; %bb.155:                              ;   in Loop: Header=BB2_67 Depth=3
	v_mov_b32_e32 v27, v29
	s_waitcnt lgkmcnt(0)
	v_mov_b32_e32 v2, v31
	v_mov_b32_e32 v28, v30
	ds_write_b32 v47, v31 offset:4096
	ds_write_b64 v46, v[29:30]
.LBB2_156:                              ;   in Loop: Header=BB2_67 Depth=3
	s_or_b32 exec_lo, exec_lo, s9
.LBB2_157:                              ;   in Loop: Header=BB2_67 Depth=3
	s_or_b32 exec_lo, exec_lo, s10
	s_waitcnt lgkmcnt(0)
	s_barrier
	buffer_gl0_inv
	s_and_saveexec_b32 s10, s2
	s_cbranch_execz .LBB2_163
; %bb.158:                              ;   in Loop: Header=BB2_67 Depth=3
	ds_read_b64 v[29:30], v46 offset:512
	ds_read_b32 v31, v47 offset:4352
	s_mov_b32 s49, exec_lo
	s_waitcnt lgkmcnt(1)
	v_cmp_lt_f64_e64 s48, v[27:28], v[29:30]
	v_cmpx_nlt_f64_e32 v[27:28], v[29:30]
	s_cbranch_execz .LBB2_160
; %bb.159:                              ;   in Loop: Header=BB2_67 Depth=3
	v_cmp_eq_f64_e32 vcc_lo, v[27:28], v[29:30]
	s_waitcnt lgkmcnt(0)
	v_cmp_gt_i32_e64 s9, v2, v31
	s_andn2_b32 s48, s48, exec_lo
	s_and_b32 s9, vcc_lo, s9
	s_and_b32 s9, s9, exec_lo
	s_or_b32 s48, s48, s9
.LBB2_160:                              ;   in Loop: Header=BB2_67 Depth=3
	s_or_b32 exec_lo, exec_lo, s49
	s_and_saveexec_b32 s9, s48
	s_cbranch_execz .LBB2_162
; %bb.161:                              ;   in Loop: Header=BB2_67 Depth=3
	v_mov_b32_e32 v27, v29
	s_waitcnt lgkmcnt(0)
	v_mov_b32_e32 v2, v31
	v_mov_b32_e32 v28, v30
	ds_write_b32 v47, v31 offset:4096
	ds_write_b64 v46, v[29:30]
.LBB2_162:                              ;   in Loop: Header=BB2_67 Depth=3
	s_or_b32 exec_lo, exec_lo, s9
.LBB2_163:                              ;   in Loop: Header=BB2_67 Depth=3
	s_or_b32 exec_lo, exec_lo, s10
	s_waitcnt lgkmcnt(0)
	s_barrier
	buffer_gl0_inv
	s_and_saveexec_b32 s84, s3
	s_cbranch_execz .LBB2_186
; %bb.164:                              ;   in Loop: Header=BB2_67 Depth=3
	ds_read_b64 v[29:30], v46 offset:256
	ds_read_b32 v31, v47 offset:4224
	s_mov_b32 s48, exec_lo
	s_waitcnt lgkmcnt(1)
	v_cmp_lt_f64_e64 s10, v[27:28], v[29:30]
	v_cmpx_nlt_f64_e32 v[27:28], v[29:30]
	s_cbranch_execz .LBB2_166
; %bb.165:                              ;   in Loop: Header=BB2_67 Depth=3
	v_cmp_eq_f64_e32 vcc_lo, v[27:28], v[29:30]
	s_waitcnt lgkmcnt(0)
	v_cmp_gt_i32_e64 s9, v2, v31
	s_andn2_b32 s10, s10, exec_lo
	s_and_b32 s9, vcc_lo, s9
	s_and_b32 s9, s9, exec_lo
	s_or_b32 s10, s10, s9
.LBB2_166:                              ;   in Loop: Header=BB2_67 Depth=3
	s_or_b32 exec_lo, exec_lo, s48
	s_and_saveexec_b32 s9, s10
	s_cbranch_execz .LBB2_168
; %bb.167:                              ;   in Loop: Header=BB2_67 Depth=3
	v_mov_b32_e32 v27, v29
	v_mov_b32_e32 v28, v30
	s_waitcnt lgkmcnt(0)
	v_mov_b32_e32 v2, v31
	ds_write_b64 v46, v[29:30]
	ds_write_b32 v47, v31 offset:4096
.LBB2_168:                              ;   in Loop: Header=BB2_67 Depth=3
	s_or_b32 exec_lo, exec_lo, s9
	ds_read_b64 v[29:30], v46 offset:128
	s_waitcnt lgkmcnt(1)
	ds_read_b32 v31, v47 offset:4160
	s_mov_b32 s48, exec_lo
	s_waitcnt lgkmcnt(1)
	v_cmp_lt_f64_e64 s10, v[27:28], v[29:30]
	v_cmpx_nlt_f64_e32 v[27:28], v[29:30]
	s_cbranch_execz .LBB2_170
; %bb.169:                              ;   in Loop: Header=BB2_67 Depth=3
	v_cmp_eq_f64_e32 vcc_lo, v[27:28], v[29:30]
	s_waitcnt lgkmcnt(0)
	v_cmp_gt_i32_e64 s9, v2, v31
	s_andn2_b32 s10, s10, exec_lo
	s_and_b32 s9, vcc_lo, s9
	s_and_b32 s9, s9, exec_lo
	s_or_b32 s10, s10, s9
.LBB2_170:                              ;   in Loop: Header=BB2_67 Depth=3
	s_or_b32 exec_lo, exec_lo, s48
	s_and_saveexec_b32 s9, s10
	s_cbranch_execz .LBB2_172
; %bb.171:                              ;   in Loop: Header=BB2_67 Depth=3
	v_mov_b32_e32 v27, v29
	v_mov_b32_e32 v28, v30
	s_waitcnt lgkmcnt(0)
	v_mov_b32_e32 v2, v31
	ds_write_b64 v46, v[29:30]
	ds_write_b32 v47, v31 offset:4096
.LBB2_172:                              ;   in Loop: Header=BB2_67 Depth=3
	s_or_b32 exec_lo, exec_lo, s9
	ds_read_b64 v[29:30], v46 offset:64
	s_waitcnt lgkmcnt(1)
	;; [unrolled: 29-line block ×5, first 2 shown]
	ds_read_b32 v31, v47 offset:4100
	s_waitcnt lgkmcnt(1)
	v_cmp_eq_f64_e32 vcc_lo, v[27:28], v[29:30]
	v_cmp_lt_f64_e64 s9, v[27:28], v[29:30]
	s_waitcnt lgkmcnt(0)
	v_cmp_gt_i32_e64 s10, v2, v31
	s_and_b32 s10, vcc_lo, s10
	s_or_b32 s9, s9, s10
	s_and_b32 exec_lo, exec_lo, s9
	s_cbranch_execz .LBB2_186
; %bb.185:                              ;   in Loop: Header=BB2_67 Depth=3
	ds_write_b64 v46, v[29:30]
	ds_write_b32 v47, v31 offset:4096
.LBB2_186:                              ;   in Loop: Header=BB2_67 Depth=3
	s_or_b32 exec_lo, exec_lo, s84
	s_waitcnt lgkmcnt(0)
	s_barrier
	buffer_gl0_inv
	ds_read_b64 v[27:28], v50
	s_add_i32 s9, s92, 1
	s_waitcnt lgkmcnt(0)
	v_cmp_ge_f64_e32 vcc_lo, v[27:28], v[15:16]
	v_cndmask_b32_e64 v2, 0, 1, vcc_lo
	v_readfirstlane_b32 s10, v2
	s_add_i32 s91, s91, s10
	s_cmp_lt_u32 s92, 4
	s_cselect_b32 s48, -1, 0
	s_cmp_lt_u32 s91, 2
	s_cselect_b32 s10, -1, 0
	s_and_b32 s48, s48, s10
	s_and_b32 vcc_lo, exec_lo, s48
	s_cbranch_vccz .LBB2_188
; %bb.187:                              ;   in Loop: Header=BB2_67 Depth=3
	s_mov_b32 s92, s9
	s_branch .LBB2_67
.LBB2_188:                              ;   in Loop: Header=BB2_22 Depth=2
	s_and_b32 s10, s63, s10
	s_and_saveexec_b32 s9, s10
	s_cbranch_execz .LBB2_190
; %bb.189:                              ;   in Loop: Header=BB2_22 Depth=2
	ds_read_b32 v27, v1
	s_add_i32 s10, s82, 1
	v_mov_b32_e32 v2, s10
	s_waitcnt lgkmcnt(0)
	v_ashrrev_i32_e32 v28, 31, v27
	v_lshlrev_b64 v[28:29], 2, v[27:28]
	v_add_nc_u32_e32 v27, 1, v27
	ds_write_b32 v1, v27
	v_add_co_u32 v28, vcc_lo, s52, v28
	v_add_co_ci_u32_e64 v29, null, s53, v29, vcc_lo
	global_store_dword v[28:29], v2, off
.LBB2_190:                              ;   in Loop: Header=BB2_22 Depth=2
	s_or_b32 exec_lo, exec_lo, s9
	v_mov_b32_e32 v27, 0
	v_mov_b32_e32 v28, 0
	v_bfrev_b32_e32 v2, -2
	s_and_saveexec_b32 s10, s7
	s_cbranch_execz .LBB2_194
; %bb.191:                              ;   in Loop: Header=BB2_22 Depth=2
	v_mov_b32_e32 v27, 0
	v_mov_b32_e32 v30, v6
	;; [unrolled: 1-line block ×3, first 2 shown]
	v_bfrev_b32_e32 v2, -2
	v_mov_b32_e32 v29, v5
	v_mov_b32_e32 v31, v0
	s_mov_b32 s48, 0
	.p2align	6
.LBB2_192:                              ;   Parent Loop BB2_12 Depth=1
                                        ;     Parent Loop BB2_22 Depth=2
                                        ; =>    This Inner Loop Header: Depth=3
	global_load_dwordx2 v[32:33], v[29:30], off
	v_cmp_eq_u32_e32 vcc_lo, 0x7fffffff, v2
	v_add_nc_u32_e32 v34, 1, v31
	v_add_nc_u32_e32 v31, 0x100, v31
	v_add_co_u32 v29, s9, 0x800, v29
	v_add_co_ci_u32_e64 v30, null, 0, v30, s9
	v_cmp_ge_u32_e64 s9, v31, v51
	s_waitcnt vmcnt(0)
	v_cmp_lt_f64_e64 s49, v[27:28], |v[32:33]|
	v_and_b32_e32 v33, 0x7fffffff, v33
	s_or_b32 vcc_lo, s49, vcc_lo
	s_or_b32 s48, s9, s48
	v_cndmask_b32_e32 v27, v27, v32, vcc_lo
	v_cndmask_b32_e32 v28, v28, v33, vcc_lo
	;; [unrolled: 1-line block ×3, first 2 shown]
	s_andn2_b32 exec_lo, exec_lo, s48
	s_cbranch_execnz .LBB2_192
; %bb.193:                              ;   in Loop: Header=BB2_22 Depth=2
	s_or_b32 exec_lo, exec_lo, s48
.LBB2_194:                              ;   in Loop: Header=BB2_22 Depth=2
	s_or_b32 exec_lo, exec_lo, s10
	ds_write_b64 v46, v[27:28]
	ds_write_b32 v47, v2 offset:4096
	s_waitcnt lgkmcnt(0)
	s_waitcnt_vscnt null, 0x0
	s_barrier
	buffer_gl0_inv
	s_and_saveexec_b32 s10, s1
	s_cbranch_execz .LBB2_200
; %bb.195:                              ;   in Loop: Header=BB2_22 Depth=2
	ds_read_b64 v[29:30], v46 offset:1024
	ds_read_b32 v31, v47 offset:4608
	s_mov_b32 s49, exec_lo
	s_waitcnt lgkmcnt(1)
	v_cmp_lt_f64_e64 s48, v[27:28], v[29:30]
	v_cmpx_nlt_f64_e32 v[27:28], v[29:30]
	s_cbranch_execz .LBB2_197
; %bb.196:                              ;   in Loop: Header=BB2_22 Depth=2
	v_cmp_eq_f64_e32 vcc_lo, v[27:28], v[29:30]
	s_waitcnt lgkmcnt(0)
	v_cmp_gt_i32_e64 s9, v2, v31
	s_andn2_b32 s48, s48, exec_lo
	s_and_b32 s9, vcc_lo, s9
	s_and_b32 s9, s9, exec_lo
	s_or_b32 s48, s48, s9
.LBB2_197:                              ;   in Loop: Header=BB2_22 Depth=2
	s_or_b32 exec_lo, exec_lo, s49
	s_and_saveexec_b32 s9, s48
	s_cbranch_execz .LBB2_199
; %bb.198:                              ;   in Loop: Header=BB2_22 Depth=2
	v_mov_b32_e32 v27, v29
	s_waitcnt lgkmcnt(0)
	v_mov_b32_e32 v2, v31
	v_mov_b32_e32 v28, v30
	ds_write_b64 v46, v[29:30]
	ds_write_b32 v47, v31 offset:4096
.LBB2_199:                              ;   in Loop: Header=BB2_22 Depth=2
	s_or_b32 exec_lo, exec_lo, s9
.LBB2_200:                              ;   in Loop: Header=BB2_22 Depth=2
	s_or_b32 exec_lo, exec_lo, s10
	s_waitcnt lgkmcnt(0)
	s_barrier
	buffer_gl0_inv
	s_and_saveexec_b32 s10, s2
	s_cbranch_execz .LBB2_206
; %bb.201:                              ;   in Loop: Header=BB2_22 Depth=2
	ds_read_b64 v[29:30], v46 offset:512
	ds_read_b32 v31, v47 offset:4352
	s_mov_b32 s49, exec_lo
	s_waitcnt lgkmcnt(1)
	v_cmp_lt_f64_e64 s48, v[27:28], v[29:30]
	v_cmpx_nlt_f64_e32 v[27:28], v[29:30]
	s_cbranch_execz .LBB2_203
; %bb.202:                              ;   in Loop: Header=BB2_22 Depth=2
	v_cmp_eq_f64_e32 vcc_lo, v[27:28], v[29:30]
	s_waitcnt lgkmcnt(0)
	v_cmp_gt_i32_e64 s9, v2, v31
	s_andn2_b32 s48, s48, exec_lo
	s_and_b32 s9, vcc_lo, s9
	s_and_b32 s9, s9, exec_lo
	s_or_b32 s48, s48, s9
.LBB2_203:                              ;   in Loop: Header=BB2_22 Depth=2
	s_or_b32 exec_lo, exec_lo, s49
	s_and_saveexec_b32 s9, s48
	s_cbranch_execz .LBB2_205
; %bb.204:                              ;   in Loop: Header=BB2_22 Depth=2
	v_mov_b32_e32 v27, v29
	s_waitcnt lgkmcnt(0)
	v_mov_b32_e32 v2, v31
	v_mov_b32_e32 v28, v30
	ds_write_b64 v46, v[29:30]
	ds_write_b32 v47, v31 offset:4096
.LBB2_205:                              ;   in Loop: Header=BB2_22 Depth=2
	s_or_b32 exec_lo, exec_lo, s9
.LBB2_206:                              ;   in Loop: Header=BB2_22 Depth=2
	s_or_b32 exec_lo, exec_lo, s10
	s_waitcnt lgkmcnt(0)
	s_barrier
	buffer_gl0_inv
	s_and_saveexec_b32 s48, s3
	s_cbranch_execz .LBB2_229
; %bb.207:                              ;   in Loop: Header=BB2_22 Depth=2
	ds_read_b64 v[29:30], v46 offset:256
	ds_read_b32 v31, v47 offset:4224
	s_mov_b32 s49, exec_lo
	s_waitcnt lgkmcnt(1)
	v_cmp_lt_f64_e64 s10, v[27:28], v[29:30]
	v_cmpx_nlt_f64_e32 v[27:28], v[29:30]
	s_cbranch_execz .LBB2_209
; %bb.208:                              ;   in Loop: Header=BB2_22 Depth=2
	v_cmp_eq_f64_e32 vcc_lo, v[27:28], v[29:30]
	s_waitcnt lgkmcnt(0)
	v_cmp_gt_i32_e64 s9, v2, v31
	s_andn2_b32 s10, s10, exec_lo
	s_and_b32 s9, vcc_lo, s9
	s_and_b32 s9, s9, exec_lo
	s_or_b32 s10, s10, s9
.LBB2_209:                              ;   in Loop: Header=BB2_22 Depth=2
	s_or_b32 exec_lo, exec_lo, s49
	s_and_saveexec_b32 s9, s10
	s_cbranch_execz .LBB2_211
; %bb.210:                              ;   in Loop: Header=BB2_22 Depth=2
	v_mov_b32_e32 v27, v29
	v_mov_b32_e32 v28, v30
	s_waitcnt lgkmcnt(0)
	v_mov_b32_e32 v2, v31
	ds_write_b64 v46, v[29:30]
	ds_write_b32 v47, v31 offset:4096
.LBB2_211:                              ;   in Loop: Header=BB2_22 Depth=2
	s_or_b32 exec_lo, exec_lo, s9
	ds_read_b64 v[29:30], v46 offset:128
	s_waitcnt lgkmcnt(1)
	ds_read_b32 v31, v47 offset:4160
	s_mov_b32 s49, exec_lo
	s_waitcnt lgkmcnt(1)
	v_cmp_lt_f64_e64 s10, v[27:28], v[29:30]
	v_cmpx_nlt_f64_e32 v[27:28], v[29:30]
	s_cbranch_execz .LBB2_213
; %bb.212:                              ;   in Loop: Header=BB2_22 Depth=2
	v_cmp_eq_f64_e32 vcc_lo, v[27:28], v[29:30]
	s_waitcnt lgkmcnt(0)
	v_cmp_gt_i32_e64 s9, v2, v31
	s_andn2_b32 s10, s10, exec_lo
	s_and_b32 s9, vcc_lo, s9
	s_and_b32 s9, s9, exec_lo
	s_or_b32 s10, s10, s9
.LBB2_213:                              ;   in Loop: Header=BB2_22 Depth=2
	s_or_b32 exec_lo, exec_lo, s49
	s_and_saveexec_b32 s9, s10
	s_cbranch_execz .LBB2_215
; %bb.214:                              ;   in Loop: Header=BB2_22 Depth=2
	v_mov_b32_e32 v27, v29
	v_mov_b32_e32 v28, v30
	s_waitcnt lgkmcnt(0)
	v_mov_b32_e32 v2, v31
	ds_write_b64 v46, v[29:30]
	ds_write_b32 v47, v31 offset:4096
.LBB2_215:                              ;   in Loop: Header=BB2_22 Depth=2
	s_or_b32 exec_lo, exec_lo, s9
	ds_read_b64 v[29:30], v46 offset:64
	s_waitcnt lgkmcnt(1)
	;; [unrolled: 29-line block ×5, first 2 shown]
	ds_read_b32 v31, v47 offset:4100
	s_waitcnt lgkmcnt(1)
	v_cmp_eq_f64_e32 vcc_lo, v[27:28], v[29:30]
	v_cmp_lt_f64_e64 s9, v[27:28], v[29:30]
	s_waitcnt lgkmcnt(0)
	v_cmp_gt_i32_e64 s10, v2, v31
	s_and_b32 s10, vcc_lo, s10
	s_or_b32 s9, s9, s10
	s_and_b32 exec_lo, exec_lo, s9
	s_cbranch_execz .LBB2_229
; %bb.228:                              ;   in Loop: Header=BB2_22 Depth=2
	ds_write_b64 v46, v[29:30]
	ds_write_b32 v47, v31 offset:4096
.LBB2_229:                              ;   in Loop: Header=BB2_22 Depth=2
	s_or_b32 exec_lo, exec_lo, s48
	v_mov_b32_e32 v27, 0
	v_mov_b32_e32 v28, 0
	s_and_saveexec_b32 s10, s7
	s_cbranch_execz .LBB2_233
; %bb.230:                              ;   in Loop: Header=BB2_22 Depth=2
	v_mov_b32_e32 v27, 0
	v_mov_b32_e32 v30, v6
	;; [unrolled: 1-line block ×5, first 2 shown]
	s_mov_b32 s48, 0
.LBB2_231:                              ;   Parent Loop BB2_12 Depth=1
                                        ;     Parent Loop BB2_22 Depth=2
                                        ; =>    This Inner Loop Header: Depth=3
	global_load_dwordx2 v[31:32], v[29:30], off
	v_add_nc_u32_e32 v2, 0x100, v2
	v_add_co_u32 v29, s9, 0x800, v29
	v_add_co_ci_u32_e64 v30, null, 0, v30, s9
	v_cmp_ge_u32_e32 vcc_lo, v2, v51
	s_or_b32 s48, vcc_lo, s48
	s_waitcnt vmcnt(0)
	v_fma_f64 v[27:28], v[31:32], v[31:32], v[27:28]
	s_andn2_b32 exec_lo, exec_lo, s48
	s_cbranch_execnz .LBB2_231
; %bb.232:                              ;   in Loop: Header=BB2_22 Depth=2
	s_or_b32 exec_lo, exec_lo, s48
.LBB2_233:                              ;   in Loop: Header=BB2_22 Depth=2
	s_or_b32 exec_lo, exec_lo, s10
	v_add_nc_u32_e32 v2, v47, v45
	ds_write_b64 v2, v[27:28] offset:2048
	s_waitcnt lgkmcnt(0)
	s_barrier
	buffer_gl0_inv
	s_and_saveexec_b32 s9, s1
	s_cbranch_execz .LBB2_235
; %bb.234:                              ;   in Loop: Header=BB2_22 Depth=2
	ds_read_b64 v[29:30], v2 offset:3072
	s_waitcnt lgkmcnt(0)
	v_add_f64 v[27:28], v[27:28], v[29:30]
.LBB2_235:                              ;   in Loop: Header=BB2_22 Depth=2
	s_or_b32 exec_lo, exec_lo, s9
	s_barrier
	buffer_gl0_inv
	s_and_saveexec_b32 s9, s1
; %bb.236:                              ;   in Loop: Header=BB2_22 Depth=2
	ds_write_b64 v2, v[27:28] offset:2048
; %bb.237:                              ;   in Loop: Header=BB2_22 Depth=2
	s_or_b32 exec_lo, exec_lo, s9
	s_waitcnt lgkmcnt(0)
	s_barrier
	buffer_gl0_inv
	s_and_saveexec_b32 s9, s2
	s_cbranch_execz .LBB2_239
; %bb.238:                              ;   in Loop: Header=BB2_22 Depth=2
	ds_read_b64 v[29:30], v2 offset:2560
	s_waitcnt lgkmcnt(0)
	v_add_f64 v[27:28], v[27:28], v[29:30]
.LBB2_239:                              ;   in Loop: Header=BB2_22 Depth=2
	s_or_b32 exec_lo, exec_lo, s9
	s_barrier
	buffer_gl0_inv
	s_and_saveexec_b32 s9, s2
; %bb.240:                              ;   in Loop: Header=BB2_22 Depth=2
	ds_write_b64 v2, v[27:28] offset:2048
; %bb.241:                              ;   in Loop: Header=BB2_22 Depth=2
	s_or_b32 exec_lo, exec_lo, s9
	s_waitcnt lgkmcnt(0)
	s_barrier
	buffer_gl0_inv
	s_and_saveexec_b32 s9, s3
	s_cbranch_execz .LBB2_243
; %bb.242:                              ;   in Loop: Header=BB2_22 Depth=2
	v_add_nc_u32_e32 v31, 0x800, v2
	ds_read2_b64 v[27:30], v31 offset1:32
	s_waitcnt lgkmcnt(0)
	v_add_f64 v[27:28], v[27:28], v[29:30]
	ds_write_b64 v2, v[27:28] offset:2048
	s_waitcnt lgkmcnt(0)
	buffer_gl1_inv
	buffer_gl0_inv
	ds_read2_b64 v[27:30], v31 offset1:16
	s_waitcnt lgkmcnt(0)
	v_add_f64 v[27:28], v[27:28], v[29:30]
	ds_write_b64 v2, v[27:28] offset:2048
	s_waitcnt lgkmcnt(0)
	buffer_gl1_inv
	buffer_gl0_inv
	;; [unrolled: 7-line block ×4, first 2 shown]
	ds_read2_b64 v[27:30], v31 offset1:2
	s_waitcnt lgkmcnt(0)
	v_add_f64 v[27:28], v[27:28], v[29:30]
	v_add_nc_u32_e32 v29, 0x800, v2
	ds_write_b64 v2, v[27:28] offset:2048
	s_waitcnt lgkmcnt(0)
	buffer_gl1_inv
	buffer_gl0_inv
	ds_read2_b64 v[27:30], v29 offset1:1
	s_waitcnt lgkmcnt(0)
	v_add_f64 v[27:28], v[27:28], v[29:30]
	ds_write_b64 v2, v[27:28] offset:2048
	s_waitcnt lgkmcnt(0)
	buffer_gl1_inv
	buffer_gl0_inv
.LBB2_243:                              ;   in Loop: Header=BB2_22 Depth=2
	s_or_b32 exec_lo, exec_lo, s9
	s_and_saveexec_b32 s9, s0
	s_cbranch_execz .LBB2_245
; %bb.244:                              ;   in Loop: Header=BB2_22 Depth=2
	ds_read_b64 v[27:28], v50 offset:2048
	s_waitcnt lgkmcnt(0)
	v_cmp_gt_f64_e32 vcc_lo, 0x10000000, v[27:28]
	s_and_b32 s10, vcc_lo, exec_lo
	s_cselect_b32 s10, 0x100, 0
	v_ldexp_f64 v[27:28], v[27:28], s10
	s_cselect_b32 s10, 0xffffff80, 0
	v_rsq_f64_e32 v[29:30], v[27:28]
	v_cmp_class_f64_e64 vcc_lo, v[27:28], 0x260
	v_mul_f64 v[31:32], v[27:28], v[29:30]
	v_mul_f64 v[29:30], v[29:30], 0.5
	v_fma_f64 v[33:34], -v[29:30], v[31:32], 0.5
	v_fma_f64 v[31:32], v[31:32], v[33:34], v[31:32]
	v_fma_f64 v[29:30], v[29:30], v[33:34], v[29:30]
	v_fma_f64 v[33:34], -v[31:32], v[31:32], v[27:28]
	v_fma_f64 v[31:32], v[33:34], v[29:30], v[31:32]
	v_fma_f64 v[33:34], -v[31:32], v[31:32], v[27:28]
	v_fma_f64 v[29:30], v[33:34], v[29:30], v[31:32]
	v_ldexp_f64 v[29:30], v[29:30], s10
	v_cndmask_b32_e32 v28, v30, v28, vcc_lo
	v_cndmask_b32_e32 v27, v29, v27, vcc_lo
	ds_write_b64 v50, v[27:28] offset:2048
.LBB2_245:                              ;   in Loop: Header=BB2_22 Depth=2
	s_or_b32 exec_lo, exec_lo, s9
	s_waitcnt lgkmcnt(0)
	s_barrier
	buffer_gl0_inv
	ds_read_b32 v29, v50 offset:4096
	ds_read_b64 v[27:28], v50 offset:2048
	s_waitcnt lgkmcnt(1)
	v_ashrrev_i32_e32 v30, 31, v29
	v_lshlrev_b64 v[29:30], 3, v[29:30]
	v_add_co_u32 v29, vcc_lo, s36, v29
	v_add_co_ci_u32_e64 v30, null, s37, v30, vcc_lo
	global_load_dwordx2 v[29:30], v[29:30], off offset:-8
	s_waitcnt vmcnt(0) lgkmcnt(0)
	s_barrier
	buffer_gl0_inv
	s_and_saveexec_b32 s10, s5
	s_cbranch_execz .LBB2_248
; %bb.246:                              ;   in Loop: Header=BB2_22 Depth=2
	v_cmp_nle_f64_e32 vcc_lo, 0, v[29:30]
	s_mov_b32 s9, 0xbff00000
	s_mov_b32 s84, 0
	v_mov_b32_e32 v2, v0
	s_and_b32 s48, vcc_lo, exec_lo
	s_cselect_b32 s85, s9, 0x3ff00000
	v_div_scale_f64 v[29:30], null, v[27:28], v[27:28], s[84:85]
	v_rcp_f64_e32 v[31:32], v[29:30]
	v_fma_f64 v[33:34], -v[29:30], v[31:32], 1.0
	v_fma_f64 v[31:32], v[31:32], v[33:34], v[31:32]
	v_fma_f64 v[33:34], -v[29:30], v[31:32], 1.0
	v_fma_f64 v[31:32], v[31:32], v[33:34], v[31:32]
	v_div_scale_f64 v[33:34], vcc_lo, s[84:85], v[27:28], s[84:85]
	v_mul_f64 v[35:36], v[33:34], v[31:32]
	v_fma_f64 v[29:30], -v[29:30], v[35:36], v[33:34]
	v_div_fmas_f64 v[29:30], v[29:30], v[31:32], v[35:36]
	v_div_fixup_f64 v[27:28], v[29:30], v[27:28], s[84:85]
	v_mov_b32_e32 v30, v6
	v_mov_b32_e32 v29, v5
	.p2align	6
.LBB2_247:                              ;   Parent Loop BB2_12 Depth=1
                                        ;     Parent Loop BB2_22 Depth=2
                                        ; =>    This Inner Loop Header: Depth=3
	global_load_dwordx2 v[31:32], v[29:30], off
	v_add_nc_u32_e32 v2, 0x100, v2
	v_cmp_lt_i32_e32 vcc_lo, s72, v2
	s_or_b32 s84, vcc_lo, s84
	s_waitcnt vmcnt(0)
	v_mul_f64 v[31:32], v[27:28], v[31:32]
	global_store_dwordx2 v[29:30], v[31:32], off
	v_add_co_u32 v29, s9, 0x800, v29
	v_add_co_ci_u32_e64 v30, null, 0, v30, s9
	s_andn2_b32 exec_lo, exec_lo, s84
	s_cbranch_execnz .LBB2_247
.LBB2_248:                              ;   in Loop: Header=BB2_22 Depth=2
	s_or_b32 exec_lo, exec_lo, s10
	v_mov_b32_e32 v28, v26
	v_mov_b32_e32 v27, v25
	s_waitcnt_vscnt null, 0x0
	s_barrier
	buffer_gl0_inv
	s_and_saveexec_b32 s10, s4
	s_cbranch_execz .LBB2_253
.LBB2_249:                              ;   in Loop: Header=BB2_22 Depth=2
	v_mov_b32_e32 v2, v0
	s_mov_b32 s48, 0
	s_inst_prefetch 0x1
	s_branch .LBB2_251
	.p2align	6
.LBB2_250:                              ;   in Loop: Header=BB2_251 Depth=3
	s_or_b32 exec_lo, exec_lo, s9
	v_add_nc_u32_e32 v29, s35, v2
	v_add_nc_u32_e32 v2, 0x100, v2
	v_ashrrev_i32_e32 v30, 31, v29
	v_cmp_le_i32_e32 vcc_lo, s24, v2
	v_lshlrev_b64 v[29:30], 3, v[29:30]
	s_or_b32 s48, vcc_lo, s48
	v_add_co_u32 v29, s9, s28, v29
	v_add_co_ci_u32_e64 v30, null, s26, v30, s9
	s_waitcnt vmcnt(0)
	global_store_dwordx2 v[29:30], v[25:26], off
	s_andn2_b32 exec_lo, exec_lo, s48
	s_cbranch_execz .LBB2_253
.LBB2_251:                              ;   Parent Loop BB2_12 Depth=1
                                        ;     Parent Loop BB2_22 Depth=2
                                        ; =>    This Inner Loop Header: Depth=3
	v_cmp_le_i32_e32 vcc_lo, s68, v2
	v_cmp_gt_i32_e64 s9, s70, v2
	v_mov_b32_e32 v25, 0
	v_mov_b32_e32 v26, 0
	s_and_b32 s49, vcc_lo, s9
	s_and_saveexec_b32 s9, s49
	s_cbranch_execz .LBB2_250
; %bb.252:                              ;   in Loop: Header=BB2_251 Depth=3
	v_add_nc_u32_e32 v25, s13, v2
	v_mov_b32_e32 v26, v1
	v_lshlrev_b64 v[25:26], 3, v[25:26]
	v_add_co_u32 v25, vcc_lo, s36, v25
	v_add_co_ci_u32_e64 v26, null, s37, v26, vcc_lo
	global_load_dwordx2 v[25:26], v[25:26], off
	s_branch .LBB2_250
.LBB2_253:                              ;   in Loop: Header=BB2_22 Depth=2
	s_inst_prefetch 0x2
	s_or_b32 exec_lo, exec_lo, s10
	s_add_i32 s82, s82, 1
	s_add_i32 s34, s34, 1
	s_add_i32 s35, s35, s29
	s_cmp_ge_i32 s82, s44
	s_waitcnt_vscnt null, 0x0
	s_barrier
	s_cselect_b32 s9, -1, 0
	s_mov_b32 s10, s25
	buffer_gl0_inv
	s_and_b32 vcc_lo, exec_lo, s9
	s_cbranch_vccz .LBB2_22
	s_branch .LBB2_10
.LBB2_254:
	s_and_saveexec_b32 s1, s0
	s_cbranch_execz .LBB2_256
; %bb.255:
	v_mov_b32_e32 v0, 0
	v_readlane_b32 s0, v58, 0
	v_readlane_b32 s1, v58, 1
	ds_read_b32 v1, v0
	s_add_u32 s0, s14, s0
	s_addc_u32 s1, s15, s1
	s_waitcnt lgkmcnt(0)
	global_store_dword v0, v1, s[0:1]
.LBB2_256:
	s_endpgm
	.section	.rodata,"a",@progbits
	.p2align	6, 0x0
	.amdhsa_kernel _ZN9rocsolver6v33100L12stein_kernelIddPdEEviPT0_lS4_lPiS4_lS5_lS5_lT1_iilS5_lS5_S4_S5_S3_S3_
		.amdhsa_group_segment_fixed_size 8
		.amdhsa_private_segment_fixed_size 0
		.amdhsa_kernarg_size 176
		.amdhsa_user_sgpr_count 6
		.amdhsa_user_sgpr_private_segment_buffer 1
		.amdhsa_user_sgpr_dispatch_ptr 0
		.amdhsa_user_sgpr_queue_ptr 0
		.amdhsa_user_sgpr_kernarg_segment_ptr 1
		.amdhsa_user_sgpr_dispatch_id 0
		.amdhsa_user_sgpr_flat_scratch_init 0
		.amdhsa_user_sgpr_private_segment_size 0
		.amdhsa_wavefront_size32 1
		.amdhsa_uses_dynamic_stack 0
		.amdhsa_system_sgpr_private_segment_wavefront_offset 0
		.amdhsa_system_sgpr_workgroup_id_x 1
		.amdhsa_system_sgpr_workgroup_id_y 1
		.amdhsa_system_sgpr_workgroup_id_z 0
		.amdhsa_system_sgpr_workgroup_info 0
		.amdhsa_system_vgpr_workitem_id 0
		.amdhsa_next_free_vgpr 59
		.amdhsa_next_free_sgpr 105
		.amdhsa_reserve_vcc 1
		.amdhsa_reserve_flat_scratch 0
		.amdhsa_float_round_mode_32 0
		.amdhsa_float_round_mode_16_64 0
		.amdhsa_float_denorm_mode_32 3
		.amdhsa_float_denorm_mode_16_64 3
		.amdhsa_dx10_clamp 1
		.amdhsa_ieee_mode 1
		.amdhsa_fp16_overflow 0
		.amdhsa_workgroup_processor_mode 1
		.amdhsa_memory_ordered 1
		.amdhsa_forward_progress 1
		.amdhsa_shared_vgpr_count 0
		.amdhsa_exception_fp_ieee_invalid_op 0
		.amdhsa_exception_fp_denorm_src 0
		.amdhsa_exception_fp_ieee_div_zero 0
		.amdhsa_exception_fp_ieee_overflow 0
		.amdhsa_exception_fp_ieee_underflow 0
		.amdhsa_exception_fp_ieee_inexact 0
		.amdhsa_exception_int_div_zero 0
	.end_amdhsa_kernel
	.section	.text._ZN9rocsolver6v33100L12stein_kernelIddPdEEviPT0_lS4_lPiS4_lS5_lS5_lT1_iilS5_lS5_S4_S5_S3_S3_,"axG",@progbits,_ZN9rocsolver6v33100L12stein_kernelIddPdEEviPT0_lS4_lPiS4_lS5_lS5_lT1_iilS5_lS5_S4_S5_S3_S3_,comdat
.Lfunc_end2:
	.size	_ZN9rocsolver6v33100L12stein_kernelIddPdEEviPT0_lS4_lPiS4_lS5_lS5_lT1_iilS5_lS5_S4_S5_S3_S3_, .Lfunc_end2-_ZN9rocsolver6v33100L12stein_kernelIddPdEEviPT0_lS4_lPiS4_lS5_lS5_lT1_iilS5_lS5_S4_S5_S3_S3_
                                        ; -- End function
	.set _ZN9rocsolver6v33100L12stein_kernelIddPdEEviPT0_lS4_lPiS4_lS5_lS5_lT1_iilS5_lS5_S4_S5_S3_S3_.num_vgpr, 59
	.set _ZN9rocsolver6v33100L12stein_kernelIddPdEEviPT0_lS4_lPiS4_lS5_lS5_lT1_iilS5_lS5_S4_S5_S3_S3_.num_agpr, 0
	.set _ZN9rocsolver6v33100L12stein_kernelIddPdEEviPT0_lS4_lPiS4_lS5_lS5_lT1_iilS5_lS5_S4_S5_S3_S3_.numbered_sgpr, 105
	.set _ZN9rocsolver6v33100L12stein_kernelIddPdEEviPT0_lS4_lPiS4_lS5_lS5_lT1_iilS5_lS5_S4_S5_S3_S3_.num_named_barrier, 0
	.set _ZN9rocsolver6v33100L12stein_kernelIddPdEEviPT0_lS4_lPiS4_lS5_lS5_lT1_iilS5_lS5_S4_S5_S3_S3_.private_seg_size, 0
	.set _ZN9rocsolver6v33100L12stein_kernelIddPdEEviPT0_lS4_lPiS4_lS5_lS5_lT1_iilS5_lS5_S4_S5_S3_S3_.uses_vcc, 1
	.set _ZN9rocsolver6v33100L12stein_kernelIddPdEEviPT0_lS4_lPiS4_lS5_lS5_lT1_iilS5_lS5_S4_S5_S3_S3_.uses_flat_scratch, 0
	.set _ZN9rocsolver6v33100L12stein_kernelIddPdEEviPT0_lS4_lPiS4_lS5_lS5_lT1_iilS5_lS5_S4_S5_S3_S3_.has_dyn_sized_stack, 0
	.set _ZN9rocsolver6v33100L12stein_kernelIddPdEEviPT0_lS4_lPiS4_lS5_lS5_lT1_iilS5_lS5_S4_S5_S3_S3_.has_recursion, 0
	.set _ZN9rocsolver6v33100L12stein_kernelIddPdEEviPT0_lS4_lPiS4_lS5_lS5_lT1_iilS5_lS5_S4_S5_S3_S3_.has_indirect_call, 0
	.section	.AMDGPU.csdata,"",@progbits
; Kernel info:
; codeLenInByte = 11340
; TotalNumSgprs: 107
; NumVgprs: 59
; ScratchSize: 0
; MemoryBound: 1
; FloatMode: 240
; IeeeMode: 1
; LDSByteSize: 8 bytes/workgroup (compile time only)
; SGPRBlocks: 0
; VGPRBlocks: 7
; NumSGPRsForWavesPerEU: 107
; NumVGPRsForWavesPerEU: 59
; Occupancy: 16
; WaveLimiterHint : 1
; COMPUTE_PGM_RSRC2:SCRATCH_EN: 0
; COMPUTE_PGM_RSRC2:USER_SGPR: 6
; COMPUTE_PGM_RSRC2:TRAP_HANDLER: 0
; COMPUTE_PGM_RSRC2:TGID_X_EN: 1
; COMPUTE_PGM_RSRC2:TGID_Y_EN: 1
; COMPUTE_PGM_RSRC2:TGID_Z_EN: 0
; COMPUTE_PGM_RSRC2:TIDIG_COMP_CNT: 0
	.section	.text._ZN9rocsolver6v33100L12stein_kernelI19rocblas_complex_numIfEfPS3_EEviPT0_lS6_lPiS6_lS7_lS7_lT1_iilS7_lS7_S6_S7_S5_S5_,"axG",@progbits,_ZN9rocsolver6v33100L12stein_kernelI19rocblas_complex_numIfEfPS3_EEviPT0_lS6_lPiS6_lS7_lS7_lT1_iilS7_lS7_S6_S7_S5_S5_,comdat
	.globl	_ZN9rocsolver6v33100L12stein_kernelI19rocblas_complex_numIfEfPS3_EEviPT0_lS6_lPiS6_lS7_lS7_lT1_iilS7_lS7_S6_S7_S5_S5_ ; -- Begin function _ZN9rocsolver6v33100L12stein_kernelI19rocblas_complex_numIfEfPS3_EEviPT0_lS6_lPiS6_lS7_lS7_lT1_iilS7_lS7_S6_S7_S5_S5_
	.p2align	8
	.type	_ZN9rocsolver6v33100L12stein_kernelI19rocblas_complex_numIfEfPS3_EEviPT0_lS6_lPiS6_lS7_lS7_lT1_iilS7_lS7_S6_S7_S5_S5_,@function
_ZN9rocsolver6v33100L12stein_kernelI19rocblas_complex_numIfEfPS3_EEviPT0_lS6_lPiS6_lS7_lS7_lT1_iilS7_lS7_S6_S7_S5_S5_: ; @_ZN9rocsolver6v33100L12stein_kernelI19rocblas_complex_numIfEfPS3_EEviPT0_lS6_lPiS6_lS7_lS7_lT1_iilS7_lS7_S6_S7_S5_S5_
; %bb.0:
	s_load_dwordx16 s[8:23], s[4:5], 0x8
	s_mov_b32 s2, s7
	s_ashr_i32 s3, s7, 31
	s_lshl_b64 s[34:35], s[2:3], 2
	s_waitcnt lgkmcnt(0)
	s_add_u32 s0, s16, s34
	s_addc_u32 s1, s17, s35
	s_load_dword s16, s[0:1], 0x0
	s_waitcnt lgkmcnt(0)
	s_cmp_lt_i32 s16, 1
	s_cbranch_scc1 .LBB3_254
; %bb.1:
	s_clause 0x1
	s_load_dwordx8 s[24:31], s[4:5], 0x70
	s_load_dwordx4 s[44:47], s[4:5], 0x90
	s_mov_b64 s[48:49], 0
	s_waitcnt lgkmcnt(0)
	s_cmp_eq_u64 s[26:27], 0
	s_cbranch_scc1 .LBB3_3
; %bb.2:
	s_mul_i32 s0, s28, s3
	s_mul_hi_u32 s1, s28, s2
	s_mul_i32 s6, s29, s2
	s_add_i32 s0, s1, s0
	s_add_i32 s1, s0, s6
	s_mul_i32 s0, s28, s2
	s_lshl_b64 s[0:1], s[0:1], 2
	s_add_u32 s48, s26, s0
	s_addc_u32 s49, s27, s1
.LBB3_3:
	v_cmp_eq_u32_e64 s0, 0, v0
	s_and_saveexec_b32 s1, s0
; %bb.4:
	v_mov_b32_e32 v1, 0
	ds_write_b32 v1, v1
; %bb.5:
	s_or_b32 exec_lo, exec_lo, s1
	v_cmp_gt_u32_e32 vcc_lo, s16, v0
	s_cmp_lg_u64 s[48:49], 0
	v_lshlrev_b32_e32 v5, 2, v0
	s_cselect_b32 s26, -1, 0
	s_and_b32 s1, vcc_lo, s26
	s_and_saveexec_b32 s6, s1
	s_cbranch_execz .LBB3_8
; %bb.6:
	v_add_co_u32 v1, s1, s48, v5
	v_mov_b32_e32 v3, 0
	v_add_co_ci_u32_e64 v2, null, s49, 0, s1
	v_mov_b32_e32 v4, v0
	s_mov_b32 s7, 0
.LBB3_7:                                ; =>This Inner Loop Header: Depth=1
	v_add_nc_u32_e32 v4, 0x100, v4
	global_store_dword v[1:2], v3, off
	v_add_co_u32 v1, s1, 0x400, v1
	v_add_co_ci_u32_e64 v2, null, 0, v2, s1
	v_cmp_le_i32_e32 vcc_lo, s16, v4
	s_or_b32 s7, vcc_lo, s7
	s_andn2_b32 exec_lo, exec_lo, s7
	s_cbranch_execnz .LBB3_7
.LBB3_8:
	s_or_b32 exec_lo, exec_lo, s6
	s_load_dwordx8 s[36:43], s[4:5], 0x48
	s_mov_b32 s27, 0
	v_mov_b32_e32 v2, 0
	s_mov_b32 s17, s27
	s_waitcnt lgkmcnt(0)
	s_mul_i32 s1, s36, s3
	s_mul_hi_u32 s6, s36, s2
	s_mul_i32 s7, s37, s2
	s_add_i32 s1, s6, s1
	s_mul_i32 s6, s36, s2
	s_add_i32 s7, s1, s7
	s_lshl_b64 s[6:7], s[6:7], 2
	s_add_u32 s33, s22, s6
	s_addc_u32 s78, s23, s7
	s_lshl_b64 s[6:7], s[16:17], 2
	s_add_u32 s22, s33, s6
	s_addc_u32 s23, s78, s7
	global_load_dword v1, v2, s[22:23] offset:-4
	s_waitcnt vmcnt(0)
	v_cmp_gt_i32_e32 vcc_lo, 1, v1
	s_cbranch_vccnz .LBB3_252
; %bb.9:
	s_mul_i32 s1, s10, s3
	s_mul_hi_u32 s7, s10, s2
	s_load_dword s28, s[4:5], 0x0
	s_mul_i32 s11, s11, s2
	s_add_i32 s1, s7, s1
	s_mul_i32 s6, s10, s2
	s_mul_i32 s37, s14, s3
	s_mul_hi_u32 s50, s14, s2
	s_mul_i32 s51, s15, s2
	s_mul_i32 s36, s14, s2
	s_add_i32 s7, s1, s11
	s_clause 0x1
	s_load_dwordx2 s[10:11], s[4:5], 0x68
	s_load_dwordx2 s[14:15], s[4:5], 0xa0
	s_lshl_b64 s[4:5], s[6:7], 2
	s_mul_i32 s52, s20, s3
	s_mul_hi_u32 s53, s20, s2
	v_add_nc_u32_e32 v22, 8, v5
	v_mov_b32_e32 v24, 1.0
	v_mov_b32_e32 v25, 1
	v_mov_b32_e32 v26, 8
	s_mov_b32 s93, 0
                                        ; implicit-def: $vgpr28
                                        ; implicit-def: $vgpr29
                                        ; implicit-def: $vgpr30
                                        ; implicit-def: $sgpr55
                                        ; implicit-def: $vgpr27
	s_waitcnt lgkmcnt(0)
	s_ashr_i32 s29, s28, 31
	s_add_u32 s17, s8, s4
	s_addc_u32 s79, s9, s5
	s_add_i32 s1, s50, s37
	s_mul_i32 s5, s21, s2
	s_add_i32 s37, s1, s51
	s_mul_i32 s4, s20, s2
	s_lshl_b64 s[6:7], s[36:37], 2
	s_mul_i32 s1, s40, s3
	v_div_scale_f32 v3, null, s15, s15, 1.0
	s_add_u32 s80, s12, s6
	s_addc_u32 s81, s13, s7
	s_add_i32 s6, s53, s52
	v_rcp_f32_e32 v4, v3
	s_add_i32 s5, s6, s5
	s_mul_hi_u32 s7, s40, s2
	s_lshl_b64 s[4:5], s[4:5], 2
	s_mul_i32 s8, s41, s2
	s_add_u32 s82, s18, s4
	s_addc_u32 s83, s19, s5
	s_add_i32 s1, s7, s1
	s_mul_i32 s6, s40, s2
	s_add_i32 s7, s1, s8
	v_fma_f32 v6, -v3, v4, 1.0
	s_mul_i32 s4, s28, 5
	s_lshl_b64 s[6:7], s[6:7], 2
	s_mul_hi_i32 s5, s4, s2
	s_mul_i32 s4, s4, s2
	s_add_u32 s84, s38, s6
	v_fmac_f32_e32 v4, v6, v4
	v_div_scale_f32 v6, vcc_lo, 1.0, s15, 1.0
	s_addc_u32 s85, s39, s7
	s_lshl_b64 s[6:7], s[4:5], 2
	s_mul_hi_i32 s5, s28, s2
	s_mul_i32 s4, s28, s2
	s_add_u32 s12, s44, s6
	s_addc_u32 s13, s45, s7
	s_lshl_b64 s[4:5], s[4:5], 2
	s_mul_i32 s1, s24, s3
	s_mul_hi_u32 s3, s24, s2
	v_mul_f32_e32 v7, v6, v4
	s_add_u32 s18, s46, s4
	s_addc_u32 s19, s47, s5
	s_add_i32 s1, s3, s1
	s_mul_i32 s3, s25, s2
	s_mul_i32 s2, s24, s2
	s_add_i32 s3, s1, s3
	v_fma_f32 v8, -v3, v7, v6
	s_lshl_b64 s[2:3], s[2:3], 3
	s_ashr_i32 s5, s10, 31
	s_mov_b32 s4, s10
	s_add_u32 s1, s42, s2
	s_addc_u32 s8, s43, s3
	s_lshl_b64 s[2:3], s[4:5], 3
	s_mul_i32 s20, s28, 3
	v_fmac_f32_e32 v7, v8, v4
	s_add_u32 s10, s1, s2
	s_addc_u32 s86, s8, s3
	s_ashr_i32 s21, s20, 31
	v_max_f32_e64 v8, s14, s14
	s_lshl_b64 s[8:9], s[20:21], 2
	v_fma_f32 v3, -v3, v7, v6
	v_add_nc_u32_e32 v6, s28, v0
	s_add_u32 s24, s12, s8
	s_addc_u32 s25, s13, s9
	s_lshl_b64 s[2:3], s[28:29], 3
	v_div_fmas_f32 v3, v3, v4, v7
	s_sub_u32 s21, 0, s2
	s_subb_u32 s87, 0, s3
	v_ashrrev_i32_e32 v7, 31, v6
	s_add_u32 s36, s24, s21
	s_addc_u32 s37, s25, s87
	s_lshl_b64 s[4:5], s[28:29], 2
	v_div_fixup_f32 v23, v3, s15, 1.0
	s_add_u32 s38, s36, s4
	s_addc_u32 s39, s37, s5
	v_lshlrev_b64 v[6:7], 2, v[6:7]
	s_add_u32 s40, s38, s2
	s_addc_u32 s41, s39, s3
	s_and_b32 s29, s0, s26
	s_add_u32 s88, s80, 4
	s_addc_u32 s89, s81, 0
	s_add_u32 s90, s17, 4
	v_add_co_u32 v3, s5, s12, v5
	v_max_f32_e32 v21, 0, v8
	s_addc_u32 s91, s79, 0
	v_add_co_u32 v8, vcc_lo, s12, v6
	v_add_co_ci_u32_e64 v4, null, s13, 0, s5
	s_add_u32 s5, s6, s8
	s_addc_u32 s6, s7, s9
	v_add_co_ci_u32_e64 v9, null, s13, v7, vcc_lo
	s_add_u32 s5, s44, s5
	s_addc_u32 s6, s45, s6
	v_add_co_u32 v5, s7, s5, v5
	v_add_co_u32 v7, vcc_lo, v8, 4
	s_lshl_b32 s92, s28, 1
	v_cmp_gt_u32_e64 s1, 0x80, v0
	v_cmp_gt_u32_e64 s2, 64, v0
	;; [unrolled: 1-line block ×3, first 2 shown]
	v_cmp_gt_i32_e64 s4, s28, v0
	v_add_co_ci_u32_e64 v6, null, s6, 0, s7
	v_add_co_ci_u32_e64 v8, null, 0, v9, vcc_lo
	s_add_u32 s42, s5, 8
	s_addc_u32 s43, s6, 0
	s_add_u32 s44, s12, 4
	s_mov_b32 s46, 0x9999999a
	s_mov_b32 s50, 0xff800000
	s_addc_u32 s45, s13, 0
	s_mov_b32 s47, 0x3fb99999
	s_mov_b32 s51, 0x41dfffff
	;; [unrolled: 1-line block ×3, first 2 shown]
	s_branch .LBB3_12
.LBB3_10:                               ;   in Loop: Header=BB3_12 Depth=1
	global_load_dword v1, v2, s[22:23] offset:-4
	s_mov_b32 s93, s8
.LBB3_11:                               ;   in Loop: Header=BB3_12 Depth=1
	s_add_i32 s52, s52, 1
	s_waitcnt vmcnt(0)
	v_cmp_ge_i32_e32 vcc_lo, s52, v1
	s_cbranch_vccnz .LBB3_252
.LBB3_12:                               ; =>This Loop Header: Depth=1
                                        ;     Child Loop BB3_17 Depth 2
                                        ;     Child Loop BB3_21 Depth 2
                                        ;       Child Loop BB3_31 Depth 3
                                        ;       Child Loop BB3_34 Depth 3
	;; [unrolled: 1-line block ×5, first 2 shown]
                                        ;         Child Loop BB3_105 Depth 4
                                        ;         Child Loop BB3_108 Depth 4
                                        ;         Child Loop BB3_111 Depth 4
                                        ;         Child Loop BB3_118 Depth 4
                                        ;           Child Loop BB3_124 Depth 5
                                        ;         Child Loop BB3_138 Depth 4
                                        ;           Child Loop BB3_139 Depth 5
                                        ;           Child Loop BB3_141 Depth 5
                                        ;         Child Loop BB3_146 Depth 4
                                        ;       Child Loop BB3_189 Depth 3
                                        ;       Child Loop BB3_228 Depth 3
	;; [unrolled: 1-line block ×4, first 2 shown]
	s_mov_b32 s54, 0
	s_cmp_eq_u32 s52, 0
	s_mov_b64 s[6:7], 0
	s_cbranch_scc1 .LBB3_14
; %bb.13:                               ;   in Loop: Header=BB3_12 Depth=1
	s_mov_b32 s53, s27
	s_lshl_b64 s[6:7], s[52:53], 2
	s_add_u32 s6, s84, s6
	s_addc_u32 s7, s85, s7
	global_load_dword v9, v2, s[6:7] offset:-4
	s_mov_b64 s[6:7], s[52:53]
	s_waitcnt vmcnt(0)
	v_readfirstlane_b32 s54, v9
.LBB3_14:                               ;   in Loop: Header=BB3_12 Depth=1
	s_lshl_b64 s[6:7], s[6:7], 2
	s_add_u32 s6, s84, s6
	s_addc_u32 s7, s85, s7
	s_not_b32 s5, s54
	global_load_dword v9, v2, s[6:7]
	s_waitcnt vmcnt(0)
	v_readfirstlane_b32 s56, v9
	s_add_i32 s58, s5, s56
	s_sub_i32 s53, s56, s54
	s_cmp_lt_i32 s58, 1
	s_cselect_b32 s94, -1, 0
	s_and_b32 vcc_lo, exec_lo, s94
	s_cbranch_vccnz .LBB3_19
; %bb.15:                               ;   in Loop: Header=BB3_12 Depth=1
	s_ashr_i32 s55, s54, 31
	s_lshl_b64 s[8:9], s[54:55], 2
	s_add_u32 s6, s17, s8
	s_addc_u32 s7, s79, s9
	s_add_u32 s60, s80, s8
	s_addc_u32 s61, s81, s9
	s_ashr_i32 s57, s56, 31
	s_lshl_b64 s[62:63], s[56:57], 2
	s_add_u32 s64, s17, s62
	s_addc_u32 s65, s79, s63
	s_add_i32 s5, s56, -2
	s_add_u32 s62, s80, s62
	s_addc_u32 s63, s81, s63
	s_clause 0x3
	global_load_dword v10, v2, s[6:7]
	global_load_dword v9, v2, s[60:61]
	global_load_dword v11, v2, s[64:65] offset:-4
	global_load_dword v12, v2, s[62:63] offset:-8
	s_cmp_ge_i32 s54, s5
	s_waitcnt vmcnt(2)
	v_add_f32_e64 v10, |v10|, |v9|
	s_waitcnt vmcnt(0)
	v_add_f32_e64 v11, |v11|, |v12|
	v_cmp_lt_f32_e32 vcc_lo, v10, v11
	v_cndmask_b32_e32 v27, v10, v11, vcc_lo
	s_cbranch_scc1 .LBB3_18
; %bb.16:                               ;   in Loop: Header=BB3_12 Depth=1
	s_add_u32 s6, s88, s8
	s_addc_u32 s7, s89, s9
	s_add_u32 s8, s90, s8
	s_addc_u32 s9, s91, s9
	s_mov_b32 s26, s54
	.p2align	6
.LBB3_17:                               ;   Parent Loop BB3_12 Depth=1
                                        ; =>  This Inner Loop Header: Depth=2
	global_load_dword v10, v2, s[8:9]
	s_add_i32 s26, s26, 1
	s_waitcnt vmcnt(0)
	v_add_f32_e64 v10, |v9|, |v10|
	global_load_dword v9, v2, s[6:7]
	s_add_u32 s6, s6, 4
	s_addc_u32 s7, s7, 0
	s_add_u32 s8, s8, 4
	s_addc_u32 s9, s9, 0
	s_cmp_lt_i32 s26, s5
	s_waitcnt vmcnt(0)
	v_add_f32_e64 v10, v10, |v9|
	v_cmp_lt_f32_e32 vcc_lo, v27, v10
	v_cndmask_b32_e32 v27, v27, v10, vcc_lo
	s_cbranch_scc1 .LBB3_17
.LBB3_18:                               ;   in Loop: Header=BB3_12 Depth=1
	v_cvt_f64_u32_e32 v[9:10], s53
	v_mul_f32_e32 v30, 0x3a83126f, v27
	s_mov_b32 s55, s93
	v_div_scale_f64 v[11:12], null, v[9:10], v[9:10], s[46:47]
	v_div_scale_f64 v[17:18], vcc_lo, s[46:47], v[9:10], s[46:47]
	v_rcp_f64_e32 v[13:14], v[11:12]
	v_fma_f64 v[15:16], -v[11:12], v[13:14], 1.0
	v_fma_f64 v[13:14], v[13:14], v[15:16], v[13:14]
	v_fma_f64 v[15:16], -v[11:12], v[13:14], 1.0
	v_fma_f64 v[13:14], v[13:14], v[15:16], v[13:14]
	v_mul_f64 v[15:16], v[17:18], v[13:14]
	v_fma_f64 v[11:12], -v[11:12], v[15:16], v[17:18]
	v_div_fmas_f64 v[11:12], v[11:12], v[13:14], v[15:16]
	v_div_fixup_f64 v[9:10], v[11:12], v[9:10], s[46:47]
	v_cmp_gt_f64_e32 vcc_lo, 0x10000000, v[9:10]
	s_and_b32 s5, vcc_lo, exec_lo
	s_cselect_b32 s5, 0x100, 0
	v_ldexp_f64 v[9:10], v[9:10], s5
	s_cselect_b32 s5, 0xffffff80, 0
	v_rsq_f64_e32 v[11:12], v[9:10]
	v_cmp_class_f64_e64 vcc_lo, v[9:10], 0x260
	v_mul_f64 v[13:14], v[9:10], v[11:12]
	v_mul_f64 v[11:12], v[11:12], 0.5
	v_fma_f64 v[15:16], -v[11:12], v[13:14], 0.5
	v_fma_f64 v[13:14], v[13:14], v[15:16], v[13:14]
	v_fma_f64 v[11:12], v[11:12], v[15:16], v[11:12]
	v_fma_f64 v[15:16], -v[13:14], v[13:14], v[9:10]
	v_fma_f64 v[13:14], v[15:16], v[11:12], v[13:14]
	v_fma_f64 v[15:16], -v[13:14], v[13:14], v[9:10]
	v_fma_f64 v[11:12], v[15:16], v[11:12], v[13:14]
	v_ldexp_f64 v[11:12], v[11:12], s5
	v_cndmask_b32_e32 v10, v12, v10, vcc_lo
	v_cndmask_b32_e32 v9, v11, v9, vcc_lo
	v_cvt_f32_f64_e32 v29, v[9:10]
.LBB3_19:                               ;   in Loop: Header=BB3_12 Depth=1
	s_cmp_ge_i32 s93, s16
	s_cbranch_scc1 .LBB3_11
; %bb.20:                               ;   in Loop: Header=BB3_12 Depth=1
	v_add_nc_u32_e32 v9, s54, v0
	s_ashr_i32 s57, s56, 31
	s_mov_b32 s59, s27
	s_lshl_b64 s[6:7], s[56:57], 2
	v_cvt_f32_u32_e32 v1, s53
	v_ashrrev_i32_e32 v10, 31, v9
	s_add_u32 s60, s17, s6
	s_addc_u32 s61, s79, s7
	s_add_i32 s6, s58, s20
	v_cmp_ge_i32_e64 s5, s58, v0
	s_ashr_i32 s7, s6, 31
	v_lshlrev_b64 v[11:12], 2, v[9:10]
	s_lshl_b64 s[6:7], s[6:7], 2
	v_mul_f32_e32 v31, v27, v1
	s_add_u32 s62, s12, s6
	s_addc_u32 s63, s13, s7
	s_lshl_b64 s[8:9], s[58:59], 2
	v_add_co_u32 v9, vcc_lo, s17, v11
	s_add_u32 s64, s18, s8
	s_addc_u32 s65, s19, s9
	s_add_i32 s59, s58, -1
	v_add_co_ci_u32_e64 v10, null, s79, v12, vcc_lo
	v_add_co_u32 v11, vcc_lo, s80, v11
	s_add_u32 s66, s24, s8
	v_cmp_gt_i32_e64 s6, s58, v0
	s_addc_u32 s67, s25, s9
	v_cmp_gt_u32_e64 s7, s53, v0
	v_add_co_ci_u32_e64 v12, null, s81, v12, vcc_lo
	v_mov_b32_e32 v1, v28
	s_cmp_gt_u32 s53, 2
	s_mul_i32 s57, s52, s16
	s_cselect_b32 s95, -1, 0
	s_mov_b32 s97, 0
	s_sub_i32 s96, 0, s54
	s_mul_i32 s98, s11, s93
	s_mov_b32 s68, s93
.LBB3_21:                               ;   Parent Loop BB3_12 Depth=1
                                        ; =>  This Loop Header: Depth=2
                                        ;       Child Loop BB3_31 Depth 3
                                        ;       Child Loop BB3_34 Depth 3
	;; [unrolled: 1-line block ×5, first 2 shown]
                                        ;         Child Loop BB3_105 Depth 4
                                        ;         Child Loop BB3_108 Depth 4
	;; [unrolled: 1-line block ×4, first 2 shown]
                                        ;           Child Loop BB3_124 Depth 5
                                        ;         Child Loop BB3_138 Depth 4
                                        ;           Child Loop BB3_139 Depth 5
                                        ;           Child Loop BB3_141 Depth 5
                                        ;         Child Loop BB3_146 Depth 4
                                        ;       Child Loop BB3_189 Depth 3
                                        ;       Child Loop BB3_228 Depth 3
	;; [unrolled: 1-line block ×4, first 2 shown]
	s_ashr_i32 s69, s68, 31
	s_mov_b32 s26, -1
	s_lshl_b64 s[8:9], s[68:69], 2
	s_add_u32 s70, s33, s8
	s_addc_u32 s71, s78, s9
	global_load_dword v13, v2, s[70:71]
	s_waitcnt vmcnt(0)
	v_add_nc_u32_e32 v13, -1, v13
	v_cmp_ne_u32_e32 vcc_lo, s52, v13
	s_cbranch_vccnz .LBB3_25
; %bb.22:                               ;   in Loop: Header=BB3_21 Depth=2
	s_add_u32 s8, s82, s8
	s_addc_u32 s9, s83, s9
	s_and_b32 vcc_lo, exec_lo, s94
	global_load_dword v28, v2, s[8:9]
	s_mov_b32 s8, -1
	s_cbranch_vccnz .LBB3_26
; %bb.23:                               ;   in Loop: Header=BB3_21 Depth=2
	s_and_b32 vcc_lo, exec_lo, s8
	s_cbranch_vccnz .LBB3_29
.LBB3_24:                               ;   in Loop: Header=BB3_21 Depth=2
	s_waitcnt vmcnt(0)
	s_waitcnt_vscnt null, 0x0
	buffer_gl0_inv
	s_and_saveexec_b32 s9, s4
	s_cbranch_execnz .LBB3_246
	s_branch .LBB3_250
.LBB3_25:                               ;   in Loop: Header=BB3_21 Depth=2
	v_mov_b32_e32 v28, v1
	s_mov_b32 s8, s68
                                        ; implicit-def: $sgpr97
                                        ; implicit-def: $sgpr98
	s_and_b32 vcc_lo, exec_lo, s26
	s_cbranch_vccz .LBB3_251
	s_branch .LBB3_10
.LBB3_26:                               ;   in Loop: Header=BB3_21 Depth=2
	s_and_saveexec_b32 s8, s0
	s_cbranch_execz .LBB3_28
; %bb.27:                               ;   in Loop: Header=BB3_21 Depth=2
	global_store_dword v2, v24, s[12:13]
.LBB3_28:                               ;   in Loop: Header=BB3_21 Depth=2
	s_or_b32 exec_lo, exec_lo, s8
	s_waitcnt vmcnt(0)
	s_waitcnt_vscnt null, 0x0
	s_barrier
	s_branch .LBB3_24
.LBB3_29:                               ;   in Loop: Header=BB3_21 Depth=2
	s_and_saveexec_b32 s9, s5
	s_cbranch_execz .LBB3_32
; %bb.30:                               ;   in Loop: Header=BB3_21 Depth=2
	s_add_i32 s8, s68, s57
	s_mov_b32 s26, 0
	v_lshl_or_b32 v15, s8, 8, v0
	v_add_nc_u32_e32 v13, 1, v15
	v_sub_nc_u32_e32 v17, 0x7ffffffe, v15
	v_mul_hi_i32 v14, 0x40000001, v13
	v_cmp_gt_u32_e32 vcc_lo, 0x7fffff07, v17
	v_lshrrev_b32_e32 v16, 31, v14
	v_ashrrev_i32_e32 v14, 29, v14
	v_add_nc_u32_e32 v14, v14, v16
	v_sub_nc_u32_e32 v16, 0xf7, v15
	v_mul_lo_u32 v14, 0x7fffffff, v14
	v_max_u32_e32 v16, 1, v16
	v_cndmask_b32_e32 v16, v16, v17, vcc_lo
	v_cmp_ne_u32_e32 vcc_lo, 0x7ffffffe, v15
	v_sub_nc_u32_e32 v17, v13, v14
	v_mov_b32_e32 v14, v4
	v_mov_b32_e32 v13, v3
	;; [unrolled: 1-line block ×3, first 2 shown]
	v_cndmask_b32_e32 v16, 1, v16, vcc_lo
	v_max_i32_e32 v17, 1, v17
.LBB3_31:                               ;   Parent Loop BB3_12 Depth=1
                                        ;     Parent Loop BB3_21 Depth=2
                                        ; =>    This Inner Loop Header: Depth=3
	v_mul_hi_i32 v18, 0x5e4789c9, v17
	v_mul_hi_i32 v19, 0x4f7a09cd, v16
	v_add_nc_u32_e32 v15, 0x100, v15
	v_lshrrev_b32_e32 v20, 31, v18
	v_ashrrev_i32_e32 v18, 14, v18
	v_lshrrev_b32_e32 v32, 31, v19
	v_ashrrev_i32_e32 v19, 14, v19
	v_add_nc_u32_e32 v18, v18, v20
	v_add_nc_u32_e32 v19, v19, v32
	v_mul_i32_i24_e32 v20, 0xadc8, v18
	v_mul_i32_i24_e32 v32, 0xce26, v19
	v_sub_nc_u32_e32 v17, v17, v20
	v_sub_nc_u32_e32 v16, v16, v32
	v_mul_lo_u32 v17, 0xbc8f, v17
	v_mul_lo_u32 v16, 0x9ef4, v16
	v_mad_i32_i24 v17, 0xfffff2b9, v18, v17
	v_mad_i32_i24 v16, 0xfffff131, v19, v16
	v_ashrrev_i32_e32 v18, 31, v17
	v_ashrrev_i32_e32 v19, 31, v16
	v_and_b32_e32 v18, 0x7fffffff, v18
	v_and_b32_e32 v19, 0x7fffff07, v19
	v_add_nc_u32_e32 v17, v18, v17
	v_add_nc_u32_e32 v16, v19, v16
	v_sub_nc_u32_e32 v18, v17, v16
	v_ashrrev_i32_e32 v19, 31, v18
	v_and_b32_e32 v19, 0x7fffffff, v19
	v_add_nc_u32_e32 v18, v19, v18
	v_cvt_f64_i32_e32 v[18:19], v18
	v_div_scale_f64 v[32:33], null, s[50:51], s[50:51], v[18:19]
	v_div_scale_f64 v[38:39], vcc_lo, v[18:19], s[50:51], v[18:19]
	v_rcp_f64_e32 v[34:35], v[32:33]
	v_fma_f64 v[36:37], -v[32:33], v[34:35], 1.0
	v_fma_f64 v[34:35], v[34:35], v[36:37], v[34:35]
	v_fma_f64 v[36:37], -v[32:33], v[34:35], 1.0
	v_fma_f64 v[34:35], v[34:35], v[36:37], v[34:35]
	v_mul_f64 v[36:37], v[38:39], v[34:35]
	v_fma_f64 v[32:33], -v[32:33], v[36:37], v[38:39]
	v_div_fmas_f64 v[32:33], v[32:33], v[34:35], v[36:37]
	v_cmp_lt_i32_e32 vcc_lo, s58, v15
	s_or_b32 s26, vcc_lo, s26
	v_div_fixup_f64 v[18:19], v[32:33], s[50:51], v[18:19]
	v_cvt_f32_f64_e32 v18, v[18:19]
	global_store_dword v[13:14], v18, off
	v_add_co_u32 v13, s8, 0x400, v13
	v_add_co_ci_u32_e64 v14, null, 0, v14, s8
	s_andn2_b32 exec_lo, exec_lo, s26
	s_cbranch_execnz .LBB3_31
.LBB3_32:                               ;   in Loop: Header=BB3_21 Depth=2
	s_or_b32 exec_lo, exec_lo, s9
	s_and_saveexec_b32 s9, s6
	s_cbranch_execz .LBB3_35
; %bb.33:                               ;   in Loop: Header=BB3_21 Depth=2
	v_mov_b32_e32 v14, v12
	v_mov_b32_e32 v16, v10
	;; [unrolled: 1-line block ×9, first 2 shown]
	s_mov_b32 s26, 0
	s_inst_prefetch 0x1
	.p2align	6
.LBB3_34:                               ;   Parent Loop BB3_12 Depth=1
                                        ;     Parent Loop BB3_21 Depth=2
                                        ; =>    This Inner Loop Header: Depth=3
	global_load_dword v33, v[15:16], off
	v_add_co_u32 v15, vcc_lo, 0x400, v15
	v_add_co_ci_u32_e64 v16, null, 0, v16, vcc_lo
	s_waitcnt vmcnt(0)
	global_store_dword v[19:20], v33, off
	global_load_dword v35, v[13:14], off
	v_add_nc_u32_e32 v33, s92, v32
	v_add_nc_u32_e32 v32, 0x100, v32
	v_ashrrev_i32_e32 v34, 31, v33
	v_cmp_le_i32_e32 vcc_lo, s58, v32
	v_lshlrev_b64 v[33:34], 2, v[33:34]
	s_or_b32 s26, vcc_lo, s26
	v_add_co_u32 v33, s8, s12, v33
	v_add_co_ci_u32_e64 v34, null, s13, v34, s8
	v_add_co_u32 v19, s8, 0x400, v19
	v_add_co_ci_u32_e64 v20, null, 0, v20, s8
	;; [unrolled: 2-line block ×3, first 2 shown]
	s_waitcnt vmcnt(0)
	global_store_dword v[33:34], v35, off
	global_store_dword v[17:18], v35, off
	v_add_co_u32 v17, s8, 0x400, v17
	v_add_co_ci_u32_e64 v18, null, 0, v18, s8
	s_andn2_b32 exec_lo, exec_lo, s26
	s_cbranch_execnz .LBB3_34
.LBB3_35:                               ;   in Loop: Header=BB3_21 Depth=2
	s_inst_prefetch 0x2
	s_or_b32 exec_lo, exec_lo, s9
	s_and_saveexec_b32 s8, s0
	s_cbranch_execz .LBB3_37
; %bb.36:                               ;   in Loop: Header=BB3_21 Depth=2
	global_load_dword v13, v2, s[60:61] offset:-4
	s_waitcnt vmcnt(0)
	global_store_dword v2, v13, s[62:63]
.LBB3_37:                               ;   in Loop: Header=BB3_21 Depth=2
	s_or_b32 exec_lo, exec_lo, s8
	s_waitcnt vmcnt(0)
	v_mul_f32_e32 v13, s14, v28
	v_sub_f32_e32 v14, v28, v1
	s_cmp_lg_u32 s97, 0
	s_waitcnt_vscnt null, 0x0
	s_cselect_b32 s69, -1, 0
	v_mul_f32_e64 v15, 0x41200000, |v13|
	v_fma_f32 v13, 0x41200000, |v13|, v1
	s_cmp_eq_u32 s97, 0
	s_barrier
	buffer_gl0_inv
	v_cmp_lt_f32_e32 vcc_lo, v14, v15
	v_cndmask_b32_e32 v13, v28, v13, vcc_lo
	s_cselect_b32 vcc_lo, -1, 0
	v_cndmask_b32_e32 v28, v13, v28, vcc_lo
	s_and_saveexec_b32 s26, s0
	s_cbranch_execz .LBB3_64
; %bb.38:                               ;   in Loop: Header=BB3_21 Depth=2
	global_load_dword v13, v2, s[24:25]
	s_mov_b64 s[8:9], 0
	s_mov_b32 s99, 1
	global_store_dword v2, v2, s[64:65]
	s_waitcnt vmcnt(0)
	v_sub_f32_e32 v13, v13, v28
	global_store_dword v2, v13, s[24:25]
	global_load_dword v14, v2, s[36:37] offset:4
	s_waitcnt vmcnt(0)
	v_add_f32_e64 v13, |v13|, |v14|
	s_branch .LBB3_40
.LBB3_39:                               ;   in Loop: Header=BB3_40 Depth=3
	s_add_u32 s8, s8, 4
	s_addc_u32 s9, s9, 0
	s_add_i32 s99, s99, 1
	s_cmp_eq_u32 s53, s99
	s_cbranch_scc1 .LBB3_61
.LBB3_40:                               ;   Parent Loop BB3_12 Depth=1
                                        ;     Parent Loop BB3_21 Depth=2
                                        ; =>    This Inner Loop Header: Depth=3
	s_add_i32 s74, s99, -1
	s_add_u32 s72, s24, s8
	s_addc_u32 s73, s25, s9
	s_add_u32 s70, s38, s8
	global_load_dword v14, v2, s[72:73] offset:4
	s_addc_u32 s71, s39, s9
	s_cmp_lt_u32 s74, s59
	s_cselect_b32 s104, -1, 0
	s_cmp_ge_u32 s74, s59
	s_waitcnt vmcnt(0)
	v_sub_f32_e32 v16, v14, v28
	global_store_dword v2, v16, s[72:73] offset:4
	global_load_dword v17, v2, s[70:71]
	s_waitcnt vmcnt(0)
	v_add_f32_e64 v14, |v16|, |v17|
	s_cbranch_scc1 .LBB3_42
; %bb.41:                               ;   in Loop: Header=BB3_40 Depth=3
	s_add_u32 s74, s36, s8
	s_addc_u32 s75, s37, s9
	global_load_dword v15, v2, s[74:75] offset:8
	s_waitcnt vmcnt(0)
	v_add_f32_e64 v14, v14, |v15|
.LBB3_42:                               ;   in Loop: Header=BB3_40 Depth=3
	global_load_dword v19, v2, s[72:73]
	s_waitcnt vmcnt(0)
	v_cmp_eq_f32_e32 vcc_lo, 0, v19
	s_cbranch_vccnz .LBB3_53
; %bb.43:                               ;   in Loop: Header=BB3_40 Depth=3
	v_and_b32_e32 v15, 0x7fffffff, v19
	v_div_scale_f32 v18, null, v13, v13, v15
	v_div_scale_f32 v15, vcc_lo, v15, v13, v15
	v_rcp_f32_e32 v20, v18
	v_fma_f32 v32, -v18, v20, 1.0
	v_fmac_f32_e32 v20, v32, v20
	v_mul_f32_e32 v32, v15, v20
	v_fma_f32 v33, -v18, v32, v15
	v_fmac_f32_e32 v32, v33, v20
	v_fma_f32 v15, -v18, v32, v15
	v_div_fmas_f32 v15, v15, v20, v32
	v_div_fixup_f32 v15, v15, v13, |v19|
	v_cmp_neq_f32_e32 vcc_lo, 0, v17
	s_cbranch_vccz .LBB3_54
.LBB3_44:                               ;   in Loop: Header=BB3_40 Depth=3
	v_and_b32_e32 v18, 0x7fffffff, v17
	s_add_u32 s74, s18, s8
	s_addc_u32 s75, s19, s9
	s_mov_b32 s76, -1
	v_div_scale_f32 v20, null, v14, v14, v18
	v_div_scale_f32 v18, vcc_lo, v18, v14, v18
	v_rcp_f32_e32 v32, v20
	v_fma_f32 v33, -v20, v32, 1.0
	v_fmac_f32_e32 v32, v33, v32
	v_mul_f32_e32 v33, v18, v32
	v_fma_f32 v34, -v20, v33, v18
	v_fmac_f32_e32 v33, v34, v32
	v_fma_f32 v18, -v20, v33, v18
	v_div_fmas_f32 v18, v18, v32, v33
	v_div_fixup_f32 v18, v18, v14, |v17|
	v_cmp_nle_f32_e32 vcc_lo, v18, v15
	s_cbranch_vccnz .LBB3_48
; %bb.45:                               ;   in Loop: Header=BB3_40 Depth=3
	v_div_scale_f32 v20, null, v19, v19, v17
	v_div_scale_f32 v34, vcc_lo, v17, v19, v17
	s_add_u32 s76, s36, s8
	v_rcp_f32_e32 v32, v20
	s_addc_u32 s77, s37, s9
	v_fma_f32 v33, -v20, v32, 1.0
	v_fmac_f32_e32 v32, v33, v32
	v_mul_f32_e32 v33, v34, v32
	v_fma_f32 v35, -v20, v33, v34
	v_fmac_f32_e32 v33, v35, v32
	v_fma_f32 v20, -v20, v33, v34
	v_div_fmas_f32 v20, v20, v32, v33
	s_andn2_b32 vcc_lo, exec_lo, s104
	v_div_fixup_f32 v20, v20, v19, v17
	global_store_dword v2, v20, s[70:71]
	s_clause 0x1
	global_load_dword v32, v2, s[72:73] offset:4
	global_load_dword v33, v2, s[76:77] offset:4
	s_waitcnt vmcnt(0)
	v_fma_f32 v20, -v20, v33, v32
	global_store_dword v2, v2, s[74:75]
	global_store_dword v2, v20, s[72:73] offset:4
	s_cbranch_vccnz .LBB3_47
; %bb.46:                               ;   in Loop: Header=BB3_40 Depth=3
	s_add_u32 s76, s40, s8
	s_addc_u32 s77, s41, s9
	global_store_dword v2, v2, s[76:77]
.LBB3_47:                               ;   in Loop: Header=BB3_40 Depth=3
	s_mov_b32 s76, 0
.LBB3_48:                               ;   in Loop: Header=BB3_40 Depth=3
	v_mov_b32_e32 v20, v14
	s_andn2_b32 vcc_lo, exec_lo, s76
	s_cbranch_vccnz .LBB3_52
; %bb.49:                               ;   in Loop: Header=BB3_40 Depth=3
	s_add_u32 s76, s36, s8
	s_addc_u32 s77, s37, s9
	global_store_dword v2, v17, s[72:73]
	global_load_dword v20, v2, s[76:77] offset:4
	v_div_scale_f32 v32, null, v17, v17, v19
	v_rcp_f32_e32 v33, v32
	v_fma_f32 v34, -v32, v33, 1.0
	v_fmac_f32_e32 v33, v34, v33
	v_div_scale_f32 v34, vcc_lo, v19, v17, v19
	v_mul_f32_e32 v35, v34, v33
	v_fma_f32 v36, -v32, v35, v34
	v_fmac_f32_e32 v35, v36, v33
	v_fma_f32 v32, -v32, v35, v34
	v_div_fmas_f32 v32, v32, v33, v35
	s_andn2_b32 vcc_lo, exec_lo, s104
	v_div_fixup_f32 v17, v32, v17, v19
	s_waitcnt vmcnt(0)
	v_fma_f32 v19, -v16, v17, v20
	global_store_dword v2, v25, s[74:75]
	global_store_dword v2, v19, s[72:73] offset:4
	s_cbranch_vccnz .LBB3_51
; %bb.50:                               ;   in Loop: Header=BB3_40 Depth=3
	global_load_dword v19, v2, s[76:77] offset:8
	s_add_u32 s72, s40, s8
	s_addc_u32 s73, s41, s9
	s_waitcnt vmcnt(0)
	v_mul_f32_e64 v20, v19, -v17
	global_store_dword v2, v19, s[72:73]
	global_store_dword v2, v20, s[76:77] offset:8
.LBB3_51:                               ;   in Loop: Header=BB3_40 Depth=3
	v_mov_b32_e32 v20, v13
	global_store_dword v2, v16, s[76:77] offset:4
	global_store_dword v2, v17, s[70:71]
.LBB3_52:                               ;   in Loop: Header=BB3_40 Depth=3
	v_mov_b32_e32 v13, v20
	s_cbranch_execz .LBB3_55
	s_branch .LBB3_58
.LBB3_53:                               ;   in Loop: Header=BB3_40 Depth=3
	v_mov_b32_e32 v15, 0
	v_cmp_neq_f32_e32 vcc_lo, 0, v17
	s_cbranch_vccnz .LBB3_44
.LBB3_54:                               ;   in Loop: Header=BB3_40 Depth=3
                                        ; implicit-def: $vgpr18
                                        ; implicit-def: $vgpr13
.LBB3_55:                               ;   in Loop: Header=BB3_40 Depth=3
	s_add_u32 s70, s18, s8
	s_addc_u32 s71, s19, s9
	s_andn2_b32 vcc_lo, exec_lo, s104
	global_store_dword v2, v2, s[70:71]
	s_cbranch_vccnz .LBB3_57
; %bb.56:                               ;   in Loop: Header=BB3_40 Depth=3
	s_add_u32 s70, s40, s8
	s_addc_u32 s71, s41, s9
	global_store_dword v2, v2, s[70:71]
.LBB3_57:                               ;   in Loop: Header=BB3_40 Depth=3
	v_mov_b32_e32 v18, 0
	v_mov_b32_e32 v13, v14
.LBB3_58:                               ;   in Loop: Header=BB3_40 Depth=3
	v_max_f32_e32 v14, v18, v18
	v_max_f32_e32 v15, v15, v15
	;; [unrolled: 1-line block ×3, first 2 shown]
	v_cmp_nle_f32_e32 vcc_lo, v14, v21
	s_cbranch_vccnz .LBB3_39
; %bb.59:                               ;   in Loop: Header=BB3_40 Depth=3
	global_load_dword v14, v2, s[64:65]
	s_waitcnt vmcnt(0)
	v_cmp_ne_u32_e32 vcc_lo, 0, v14
	s_cbranch_vccnz .LBB3_39
; %bb.60:                               ;   in Loop: Header=BB3_40 Depth=3
	v_mov_b32_e32 v14, s99
	global_store_dword v2, v14, s[64:65]
	s_branch .LBB3_39
.LBB3_61:                               ;   in Loop: Header=BB3_21 Depth=2
	global_load_dword v14, v2, s[66:67]
	v_mul_f32_e32 v13, v21, v13
	s_waitcnt vmcnt(0)
	v_cmp_le_f32_e64 s8, |v14|, v13
	s_and_b32 vcc_lo, exec_lo, s8
	s_cbranch_vccz .LBB3_64
; %bb.62:                               ;   in Loop: Header=BB3_21 Depth=2
	global_load_dword v13, v2, s[64:65]
	s_waitcnt vmcnt(0)
	v_cmp_ne_u32_e32 vcc_lo, 0, v13
	s_cbranch_vccnz .LBB3_64
; %bb.63:                               ;   in Loop: Header=BB3_21 Depth=2
	v_mov_b32_e32 v13, s53
	global_store_dword v2, v13, s[64:65]
.LBB3_64:                               ;   in Loop: Header=BB3_21 Depth=2
	s_or_b32 exec_lo, exec_lo, s26
	v_sub_f32_e32 v1, v28, v1
	s_mov_b32 s75, 0
	s_mov_b32 s76, 0
	v_cmp_gt_f32_e64 s74, |v1|, v30
	v_mov_b32_e32 v1, 0
	v_bfrev_b32_e32 v15, -2
	s_and_saveexec_b32 s9, s7
	s_cbranch_execz .LBB3_68
.LBB3_65:                               ;   in Loop: Header=BB3_21 Depth=2
	v_mov_b32_e32 v14, v4
	v_mov_b32_e32 v1, 0
	v_bfrev_b32_e32 v15, -2
	v_mov_b32_e32 v13, v3
	v_mov_b32_e32 v16, v0
	s_mov_b32 s26, 0
	.p2align	6
.LBB3_66:                               ;   Parent Loop BB3_12 Depth=1
                                        ;     Parent Loop BB3_21 Depth=2
                                        ; =>    This Inner Loop Header: Depth=3
	global_load_dword v17, v[13:14], off
	v_cmp_eq_u32_e32 vcc_lo, 0x7fffffff, v15
	v_add_nc_u32_e32 v18, 1, v16
	v_add_nc_u32_e32 v16, 0x100, v16
	v_add_co_u32 v13, s8, 0x400, v13
	v_add_co_ci_u32_e64 v14, null, 0, v14, s8
	v_cmp_le_u32_e64 s8, s53, v16
	s_waitcnt vmcnt(0)
	v_cmp_lt_f32_e64 s70, v1, |v17|
	s_or_b32 vcc_lo, s70, vcc_lo
	s_or_b32 s26, s8, s26
	v_cndmask_b32_e64 v1, v1, |v17|, vcc_lo
	v_cndmask_b32_e32 v15, v15, v18, vcc_lo
	s_andn2_b32 exec_lo, exec_lo, s26
	s_cbranch_execnz .LBB3_66
; %bb.67:                               ;   in Loop: Header=BB3_21 Depth=2
	s_or_b32 exec_lo, exec_lo, s26
.LBB3_68:                               ;   Parent Loop BB3_12 Depth=1
                                        ;     Parent Loop BB3_21 Depth=2
                                        ; =>    This Loop Header: Depth=3
                                        ;         Child Loop BB3_105 Depth 4
                                        ;         Child Loop BB3_108 Depth 4
                                        ;         Child Loop BB3_111 Depth 4
                                        ;         Child Loop BB3_118 Depth 4
                                        ;           Child Loop BB3_124 Depth 5
                                        ;         Child Loop BB3_138 Depth 4
                                        ;           Child Loop BB3_139 Depth 5
                                        ;           Child Loop BB3_141 Depth 5
                                        ;         Child Loop BB3_146 Depth 4
	s_or_b32 exec_lo, exec_lo, s9
	ds_write2st64_b32 v22, v1, v15 offset1:8
	s_waitcnt lgkmcnt(0)
	s_waitcnt_vscnt null, 0x0
	s_barrier
	buffer_gl0_inv
	s_and_saveexec_b32 s9, s1
	s_cbranch_execz .LBB3_74
; %bb.69:                               ;   in Loop: Header=BB3_68 Depth=3
	ds_read2st64_b32 v[13:14], v22 offset0:2 offset1:10
	s_mov_b32 s70, exec_lo
	s_waitcnt lgkmcnt(0)
	v_cmp_lt_f32_e64 s26, v1, v13
	v_cmpx_nlt_f32_e32 v1, v13
; %bb.70:                               ;   in Loop: Header=BB3_68 Depth=3
	v_cmp_eq_f32_e32 vcc_lo, v1, v13
	v_cmp_gt_i32_e64 s8, v15, v14
	s_andn2_b32 s26, s26, exec_lo
	s_and_b32 s8, vcc_lo, s8
	s_and_b32 s8, s8, exec_lo
	s_or_b32 s26, s26, s8
; %bb.71:                               ;   in Loop: Header=BB3_68 Depth=3
	s_or_b32 exec_lo, exec_lo, s70
	s_and_saveexec_b32 s8, s26
; %bb.72:                               ;   in Loop: Header=BB3_68 Depth=3
	v_mov_b32_e32 v15, v14
	v_mov_b32_e32 v1, v13
	ds_write2st64_b32 v22, v13, v14 offset1:8
; %bb.73:                               ;   in Loop: Header=BB3_68 Depth=3
	s_or_b32 exec_lo, exec_lo, s8
.LBB3_74:                               ;   in Loop: Header=BB3_68 Depth=3
	s_or_b32 exec_lo, exec_lo, s9
	s_waitcnt lgkmcnt(0)
	s_barrier
	buffer_gl0_inv
	s_and_saveexec_b32 s9, s2
	s_cbranch_execz .LBB3_80
; %bb.75:                               ;   in Loop: Header=BB3_68 Depth=3
	ds_read2st64_b32 v[13:14], v22 offset0:1 offset1:9
	s_mov_b32 s70, exec_lo
	s_waitcnt lgkmcnt(0)
	v_cmp_lt_f32_e64 s26, v1, v13
	v_cmpx_nlt_f32_e32 v1, v13
; %bb.76:                               ;   in Loop: Header=BB3_68 Depth=3
	v_cmp_eq_f32_e32 vcc_lo, v1, v13
	v_cmp_gt_i32_e64 s8, v15, v14
	s_andn2_b32 s26, s26, exec_lo
	s_and_b32 s8, vcc_lo, s8
	s_and_b32 s8, s8, exec_lo
	s_or_b32 s26, s26, s8
; %bb.77:                               ;   in Loop: Header=BB3_68 Depth=3
	s_or_b32 exec_lo, exec_lo, s70
	s_and_saveexec_b32 s8, s26
; %bb.78:                               ;   in Loop: Header=BB3_68 Depth=3
	v_mov_b32_e32 v15, v14
	v_mov_b32_e32 v1, v13
	ds_write2st64_b32 v22, v13, v14 offset1:8
; %bb.79:                               ;   in Loop: Header=BB3_68 Depth=3
	s_or_b32 exec_lo, exec_lo, s8
.LBB3_80:                               ;   in Loop: Header=BB3_68 Depth=3
	s_or_b32 exec_lo, exec_lo, s9
	s_waitcnt lgkmcnt(0)
	s_barrier
	buffer_gl0_inv
	s_and_saveexec_b32 s26, s3
	s_cbranch_execz .LBB3_103
; %bb.81:                               ;   in Loop: Header=BB3_68 Depth=3
	v_add_nc_u32_e32 v13, 0x80, v22
	s_mov_b32 s70, exec_lo
	ds_read2st64_b32 v[13:14], v13 offset1:8
	s_waitcnt lgkmcnt(0)
	v_cmp_lt_f32_e64 s9, v1, v13
	v_cmpx_nlt_f32_e32 v1, v13
; %bb.82:                               ;   in Loop: Header=BB3_68 Depth=3
	v_cmp_eq_f32_e32 vcc_lo, v1, v13
	v_cmp_gt_i32_e64 s8, v15, v14
	s_andn2_b32 s9, s9, exec_lo
	s_and_b32 s8, vcc_lo, s8
	s_and_b32 s8, s8, exec_lo
	s_or_b32 s9, s9, s8
; %bb.83:                               ;   in Loop: Header=BB3_68 Depth=3
	s_or_b32 exec_lo, exec_lo, s70
	s_and_saveexec_b32 s8, s9
; %bb.84:                               ;   in Loop: Header=BB3_68 Depth=3
	v_mov_b32_e32 v1, v13
	v_mov_b32_e32 v15, v14
	ds_write2st64_b32 v22, v13, v14 offset1:8
; %bb.85:                               ;   in Loop: Header=BB3_68 Depth=3
	s_or_b32 exec_lo, exec_lo, s8
	v_add_nc_u32_e32 v13, 64, v22
	s_mov_b32 s70, exec_lo
	ds_read2st64_b32 v[13:14], v13 offset1:8
	s_waitcnt lgkmcnt(0)
	v_cmp_lt_f32_e64 s9, v1, v13
	v_cmpx_nlt_f32_e32 v1, v13
; %bb.86:                               ;   in Loop: Header=BB3_68 Depth=3
	v_cmp_eq_f32_e32 vcc_lo, v1, v13
	v_cmp_gt_i32_e64 s8, v15, v14
	s_andn2_b32 s9, s9, exec_lo
	s_and_b32 s8, vcc_lo, s8
	s_and_b32 s8, s8, exec_lo
	s_or_b32 s9, s9, s8
; %bb.87:                               ;   in Loop: Header=BB3_68 Depth=3
	s_or_b32 exec_lo, exec_lo, s70
	s_and_saveexec_b32 s8, s9
; %bb.88:                               ;   in Loop: Header=BB3_68 Depth=3
	v_mov_b32_e32 v1, v13
	v_mov_b32_e32 v15, v14
	ds_write2st64_b32 v22, v13, v14 offset1:8
; %bb.89:                               ;   in Loop: Header=BB3_68 Depth=3
	s_or_b32 exec_lo, exec_lo, s8
	;; [unrolled: 22-line block ×4, first 2 shown]
	v_add_nc_u32_e32 v13, 8, v22
	s_mov_b32 s70, exec_lo
	ds_read2st64_b32 v[13:14], v13 offset1:8
	s_waitcnt lgkmcnt(0)
	v_cmp_lt_f32_e64 s9, v1, v13
	v_cmpx_nlt_f32_e32 v1, v13
; %bb.98:                               ;   in Loop: Header=BB3_68 Depth=3
	v_cmp_eq_f32_e32 vcc_lo, v1, v13
	v_cmp_gt_i32_e64 s8, v15, v14
	s_andn2_b32 s9, s9, exec_lo
	s_and_b32 s8, vcc_lo, s8
	s_and_b32 s8, s8, exec_lo
	s_or_b32 s9, s9, s8
; %bb.99:                               ;   in Loop: Header=BB3_68 Depth=3
	s_or_b32 exec_lo, exec_lo, s70
	s_and_saveexec_b32 s8, s9
; %bb.100:                              ;   in Loop: Header=BB3_68 Depth=3
	v_mov_b32_e32 v1, v13
	v_mov_b32_e32 v15, v14
	ds_write2st64_b32 v22, v13, v14 offset1:8
; %bb.101:                              ;   in Loop: Header=BB3_68 Depth=3
	s_or_b32 exec_lo, exec_lo, s8
	v_add_nc_u32_e32 v13, 4, v22
	ds_read2st64_b32 v[13:14], v13 offset1:8
	s_waitcnt lgkmcnt(0)
	v_cmp_eq_f32_e32 vcc_lo, v1, v13
	v_cmp_gt_i32_e64 s8, v15, v14
	v_cmp_lt_f32_e64 s9, v1, v13
	s_and_b32 s8, vcc_lo, s8
	s_or_b32 s8, s9, s8
	s_and_b32 exec_lo, exec_lo, s8
; %bb.102:                              ;   in Loop: Header=BB3_68 Depth=3
	ds_write2st64_b32 v22, v13, v14 offset1:8
.LBB3_103:                              ;   in Loop: Header=BB3_68 Depth=3
	s_or_b32 exec_lo, exec_lo, s26
	s_waitcnt lgkmcnt(0)
	s_barrier
	buffer_gl0_inv
	s_and_saveexec_b32 s9, s5
	s_cbranch_execz .LBB3_106
; %bb.104:                              ;   in Loop: Header=BB3_68 Depth=3
	global_load_dword v1, v2, s[62:63]
	ds_read_b32 v15, v26
	s_mov_b32 s26, 0
	s_waitcnt vmcnt(0)
	v_cmp_lt_f32_e64 s8, s14, |v1|
	v_cndmask_b32_e64 v1, s14, |v1|, s8
	v_mul_f32_e32 v1, v31, v1
	s_waitcnt lgkmcnt(0)
	v_div_scale_f32 v13, null, v15, v15, v1
	v_div_scale_f32 v17, vcc_lo, v1, v15, v1
	v_rcp_f32_e32 v14, v13
	v_fma_f32 v16, -v13, v14, 1.0
	v_fmac_f32_e32 v14, v16, v14
	v_mul_f32_e32 v16, v17, v14
	v_fma_f32 v18, -v13, v16, v17
	v_fmac_f32_e32 v16, v18, v14
	v_fma_f32 v13, -v13, v16, v17
	v_div_fmas_f32 v16, v13, v14, v16
	v_mov_b32_e32 v14, v4
	v_mov_b32_e32 v13, v3
	v_div_fixup_f32 v1, v16, v15, v1
	v_mov_b32_e32 v15, v0
.LBB3_105:                              ;   Parent Loop BB3_12 Depth=1
                                        ;     Parent Loop BB3_21 Depth=2
                                        ;       Parent Loop BB3_68 Depth=3
                                        ; =>      This Inner Loop Header: Depth=4
	global_load_dword v16, v[13:14], off
	v_add_nc_u32_e32 v15, 0x100, v15
	v_cmp_lt_i32_e32 vcc_lo, s58, v15
	s_or_b32 s26, vcc_lo, s26
	s_waitcnt vmcnt(0)
	v_mul_f32_e32 v16, v1, v16
	global_store_dword v[13:14], v16, off
	v_add_co_u32 v13, s8, 0x400, v13
	v_add_co_ci_u32_e64 v14, null, 0, v14, s8
	s_andn2_b32 exec_lo, exec_lo, s26
	s_cbranch_execnz .LBB3_105
.LBB3_106:                              ;   in Loop: Header=BB3_68 Depth=3
	s_or_b32 exec_lo, exec_lo, s9
	s_waitcnt_vscnt null, 0x0
	s_barrier
	buffer_gl0_inv
	s_and_saveexec_b32 s77, s0
	s_cbranch_execz .LBB3_134
; %bb.107:                              ;   in Loop: Header=BB3_68 Depth=3
	s_clause 0x1
	global_load_dwordx2 v[13:14], v2, s[24:25]
	global_load_dword v1, v2, s[36:37] offset:4
	s_andn2_b32 vcc_lo, exec_lo, s95
	s_mov_b64 s[8:9], s[40:41]
	s_mov_b64 s[70:71], s[42:43]
	s_mov_b32 s26, s59
	s_waitcnt vmcnt(0)
	v_max3_f32 v1, |v13|, |v14|, |v1|
	s_cbranch_vccnz .LBB3_109
	.p2align	6
.LBB3_108:                              ;   Parent Loop BB3_12 Depth=1
                                        ;     Parent Loop BB3_21 Depth=2
                                        ;       Parent Loop BB3_68 Depth=3
                                        ; =>      This Inner Loop Header: Depth=4
	s_add_u32 s72, s70, s21
	s_addc_u32 s73, s71, s87
	s_clause 0x2
	global_load_dword v13, v2, s[70:71]
	global_load_dword v14, v2, s[8:9]
	;; [unrolled: 1-line block ×3, first 2 shown]
	s_add_i32 s26, s26, -1
	s_add_u32 s70, s70, 4
	s_addc_u32 s71, s71, 0
	s_add_u32 s8, s8, 4
	s_addc_u32 s9, s9, 0
	s_cmp_lg_u32 s26, 0
	s_waitcnt vmcnt(1)
	v_max_f32_e64 v14, |v14|, |v14|
	s_waitcnt vmcnt(0)
	v_max_f32_e64 v15, |v15|, |v15|
	v_max_f32_e32 v14, v15, v14
	v_max3_f32 v1, v1, |v13|, v14
	s_cbranch_scc1 .LBB3_108
.LBB3_109:                              ;   in Loop: Header=BB3_68 Depth=3
	s_mov_b32 s26, s58
	s_mov_b64 s[8:9], s[18:19]
	s_mov_b64 s[70:71], s[38:39]
	;; [unrolled: 1-line block ×3, first 2 shown]
	s_inst_prefetch 0x1
	s_branch .LBB3_111
	.p2align	6
.LBB3_110:                              ;   in Loop: Header=BB3_111 Depth=4
	s_add_u32 s72, s72, 4
	s_addc_u32 s73, s73, 0
	s_add_u32 s70, s70, 4
	s_addc_u32 s71, s71, 0
	s_add_u32 s8, s8, 4
	s_addc_u32 s9, s9, 0
	s_add_i32 s26, s26, -1
	s_cmp_lg_u32 s26, 0
	s_cbranch_scc0 .LBB3_115
.LBB3_111:                              ;   Parent Loop BB3_12 Depth=1
                                        ;     Parent Loop BB3_21 Depth=2
                                        ;       Parent Loop BB3_68 Depth=3
                                        ; =>      This Inner Loop Header: Depth=4
	global_load_dword v13, v2, s[8:9]
	s_waitcnt vmcnt(0)
	v_cmp_ne_u32_e32 vcc_lo, 0, v13
	s_cbranch_vccz .LBB3_113
; %bb.112:                              ;   in Loop: Header=BB3_111 Depth=4
	global_load_dwordx2 v[13:14], v2, s[72:73] offset:-4
	s_waitcnt vmcnt(0)
	global_store_dword v2, v14, s[72:73] offset:-4
	global_load_dword v15, v2, s[70:71]
	s_waitcnt vmcnt(0)
	v_fma_f32 v13, -v14, v15, v13
	global_store_dword v2, v13, s[72:73]
	s_cbranch_execnz .LBB3_110
	s_branch .LBB3_114
	.p2align	6
.LBB3_113:                              ;   in Loop: Header=BB3_111 Depth=4
.LBB3_114:                              ;   in Loop: Header=BB3_111 Depth=4
	s_clause 0x1
	global_load_dwordx2 v[13:14], v2, s[72:73] offset:-4
	global_load_dword v15, v2, s[70:71]
	s_waitcnt vmcnt(0)
	v_fma_f32 v13, -v15, v13, v14
	global_store_dword v2, v13, s[72:73]
	s_branch .LBB3_110
.LBB3_115:                              ;   in Loop: Header=BB3_68 Depth=3
	s_inst_prefetch 0x2
	v_mul_f32_e32 v1, s14, v1
	s_mov_b32 s26, s58
	v_cmp_eq_f32_e32 vcc_lo, 0, v1
	v_cndmask_b32_e64 v1, v1, s14, vcc_lo
	v_and_b32_e32 v13, 0x7fffffff, v1
	s_branch .LBB3_118
.LBB3_116:                              ;   in Loop: Header=BB3_118 Depth=4
	v_mov_b32_e32 v15, v19
.LBB3_117:                              ;   in Loop: Header=BB3_118 Depth=4
	v_div_scale_f32 v16, null, v15, v15, v14
	s_add_i32 s8, s26, -1
	s_cmp_gt_i32 s26, 0
	s_mov_b32 s26, s8
	v_rcp_f32_e32 v17, v16
	v_fma_f32 v18, -v16, v17, 1.0
	v_fmac_f32_e32 v17, v18, v17
	v_div_scale_f32 v18, vcc_lo, v14, v15, v14
	v_mul_f32_e32 v19, v18, v17
	v_fma_f32 v20, -v16, v19, v18
	v_fmac_f32_e32 v19, v20, v17
	v_fma_f32 v16, -v16, v19, v18
	v_div_fmas_f32 v16, v16, v17, v19
	v_div_fixup_f32 v14, v16, v15, v14
	global_store_dword v2, v14, s[70:71]
	s_cbranch_scc0 .LBB3_134
.LBB3_118:                              ;   Parent Loop BB3_12 Depth=1
                                        ;     Parent Loop BB3_21 Depth=2
                                        ;       Parent Loop BB3_68 Depth=3
                                        ; =>      This Loop Header: Depth=4
                                        ;           Child Loop BB3_124 Depth 5
	s_lshl_b64 s[8:9], s[26:27], 2
	s_add_u32 s70, s12, s8
	s_addc_u32 s71, s13, s9
	s_cmp_ge_i32 s26, s58
	global_load_dword v14, v2, s[70:71]
	s_cbranch_scc1 .LBB3_120
; %bb.119:                              ;   in Loop: Header=BB3_118 Depth=4
	s_add_u32 s72, s36, s8
	s_addc_u32 s73, s37, s9
	s_clause 0x1
	global_load_dword v15, v2, s[72:73] offset:4
	global_load_dword v16, v2, s[70:71] offset:4
	s_waitcnt vmcnt(0)
	v_fma_f32 v14, -v15, v16, v14
.LBB3_120:                              ;   in Loop: Header=BB3_118 Depth=4
	s_cmp_ge_i32 s26, s59
	s_cbranch_scc1 .LBB3_122
; %bb.121:                              ;   in Loop: Header=BB3_118 Depth=4
	s_add_u32 s72, s40, s8
	s_addc_u32 s73, s41, s9
	s_clause 0x1
	global_load_dword v15, v2, s[72:73]
	global_load_dword v16, v2, s[70:71] offset:8
	s_waitcnt vmcnt(0)
	v_fma_f32 v14, -v15, v16, v14
.LBB3_122:                              ;   in Loop: Header=BB3_118 Depth=4
	s_add_u32 s8, s24, s8
	s_addc_u32 s9, s25, s9
	global_load_dword v15, v2, s[8:9]
	s_waitcnt vmcnt(0)
	v_cmp_nlt_f32_e64 s8, |v15|, 1.0
	s_and_b32 vcc_lo, exec_lo, s8
	s_cbranch_vccnz .LBB3_117
; %bb.123:                              ;   in Loop: Header=BB3_118 Depth=4
	v_cmp_nle_f32_e32 vcc_lo, 0, v15
	v_and_b32_e32 v18, 0x7fffffff, v15
	v_mul_f32_e64 v16, s15, |v14|
	v_cndmask_b32_e64 v17, |v1|, -v13, vcc_lo
	.p2align	6
.LBB3_124:                              ;   Parent Loop BB3_12 Depth=1
                                        ;     Parent Loop BB3_21 Depth=2
                                        ;       Parent Loop BB3_68 Depth=3
                                        ;         Parent Loop BB3_118 Depth=4
                                        ; =>        This Inner Loop Header: Depth=5
	v_cmp_ngt_f32_e32 vcc_lo, s15, v18
	s_mov_b32 s8, -1
	s_mov_b32 s9, 0
	s_mov_b32 s72, -1
	s_cbranch_vccnz .LBB3_128
; %bb.125:                              ;   in Loop: Header=BB3_124 Depth=5
	s_andn2_b32 vcc_lo, exec_lo, s72
	s_cbranch_vccz .LBB3_129
.LBB3_126:                              ;   in Loop: Header=BB3_124 Depth=5
	s_andn2_b32 vcc_lo, exec_lo, s9
	s_cbranch_vccnz .LBB3_130
.LBB3_127:                              ;   in Loop: Header=BB3_124 Depth=5
	v_add_f32_e32 v19, v15, v17
	v_add_f32_e32 v17, v17, v17
	s_mov_b32 s8, -1
	v_and_b32_e32 v18, 0x7fffffff, v19
	v_cmp_nlt_f32_e64 s9, |v19|, 1.0
	s_andn2_b32 vcc_lo, exec_lo, s9
	s_cbranch_vccnz .LBB3_131
	s_branch .LBB3_132
	.p2align	6
.LBB3_128:                              ;   in Loop: Header=BB3_124 Depth=5
	v_mul_f32_e32 v19, v23, v18
	v_cmp_gt_f32_e64 s9, |v14|, v19
	s_cbranch_execnz .LBB3_126
.LBB3_129:                              ;   in Loop: Header=BB3_124 Depth=5
	v_cmp_eq_f32_e32 vcc_lo, 0, v15
	v_cmp_gt_f32_e64 s8, v16, v18
	s_or_b32 s9, vcc_lo, s8
	s_mov_b32 s8, 0
	s_andn2_b32 vcc_lo, exec_lo, s9
	s_cbranch_vccz .LBB3_127
.LBB3_130:                              ;   in Loop: Header=BB3_118 Depth=4
	v_mov_b32_e32 v19, v15
                                        ; implicit-def: $vgpr17
                                        ; implicit-def: $vgpr18
	s_branch .LBB3_132
.LBB3_131:                              ;   in Loop: Header=BB3_124 Depth=5
	v_mov_b32_e32 v15, v19
	s_branch .LBB3_124
.LBB3_132:                              ;   in Loop: Header=BB3_118 Depth=4
	s_andn2_b32 vcc_lo, exec_lo, s8
	s_cbranch_vccz .LBB3_116
; %bb.133:                              ;   in Loop: Header=BB3_118 Depth=4
	v_mul_f32_e32 v14, v23, v14
	v_mul_f32_e32 v19, v23, v15
	s_branch .LBB3_116
.LBB3_134:                              ;   in Loop: Header=BB3_68 Depth=3
	s_or_b32 exec_lo, exec_lo, s77
	s_andn2_b32 vcc_lo, exec_lo, s69
	s_waitcnt_vscnt null, 0x0
	s_barrier
	buffer_gl0_inv
	s_cbranch_vccnz .LBB3_144
; %bb.135:                              ;   in Loop: Header=BB3_68 Depth=3
	s_and_b32 s8, s74, exec_lo
	s_cselect_b32 s26, s68, s55
	s_mov_b32 s55, s68
	s_cmp_eq_u32 s26, s68
	s_cbranch_scc1 .LBB3_144
; %bb.136:                              ;   in Loop: Header=BB3_68 Depth=3
	s_cmp_lt_i32 s26, s68
	s_cselect_b32 s8, -1, 0
	s_and_b32 s8, s0, s8
	s_and_saveexec_b32 s55, s8
	s_cbranch_execz .LBB3_143
; %bb.137:                              ;   in Loop: Header=BB3_68 Depth=3
	s_mul_i32 s8, s11, s26
	s_mov_b32 s73, s26
	s_add_i32 s72, s54, s8
	s_inst_prefetch 0x1
	.p2align	6
.LBB3_138:                              ;   Parent Loop BB3_12 Depth=1
                                        ;     Parent Loop BB3_21 Depth=2
                                        ;       Parent Loop BB3_68 Depth=3
                                        ; =>      This Loop Header: Depth=4
                                        ;           Child Loop BB3_139 Depth 5
                                        ;           Child Loop BB3_141 Depth 5
	v_mov_b32_e32 v1, 0
	s_mov_b64 s[8:9], s[12:13]
	s_mov_b32 s70, s72
	s_mov_b32 s77, s53
.LBB3_139:                              ;   Parent Loop BB3_12 Depth=1
                                        ;     Parent Loop BB3_21 Depth=2
                                        ;       Parent Loop BB3_68 Depth=3
                                        ;         Parent Loop BB3_138 Depth=4
                                        ; =>        This Inner Loop Header: Depth=5
	s_ashr_i32 s71, s70, 31
	s_lshl_b64 vcc, s[70:71], 3
	s_add_u32 vcc_lo, s10, vcc_lo
	s_addc_u32 vcc_hi, s86, vcc_hi
	s_clause 0x1
	global_load_dword v13, v2, s[8:9]
	global_load_dword v14, v2, vcc
	s_add_i32 s77, s77, -1
	s_add_i32 s70, s70, 1
	s_add_u32 s8, s8, 4
	s_addc_u32 s9, s9, 0
	s_cmp_lg_u32 s77, 0
	s_waitcnt vmcnt(0)
	v_fmac_f32_e32 v1, v13, v14
	s_cbranch_scc1 .LBB3_139
; %bb.140:                              ;   in Loop: Header=BB3_138 Depth=4
	s_mov_b32 s70, 0
	s_mov_b64 s[8:9], s[12:13]
	.p2align	6
.LBB3_141:                              ;   Parent Loop BB3_12 Depth=1
                                        ;     Parent Loop BB3_21 Depth=2
                                        ;       Parent Loop BB3_68 Depth=3
                                        ;         Parent Loop BB3_138 Depth=4
                                        ; =>        This Inner Loop Header: Depth=5
	s_add_i32 vcc_lo, s72, s70
	global_load_dword v13, v2, s[8:9]
	s_ashr_i32 vcc_hi, vcc_lo, 31
	s_lshl_b64 vcc, vcc, 3
	s_add_u32 vcc_lo, s10, vcc_lo
	s_addc_u32 vcc_hi, s86, vcc_hi
	s_add_i32 s70, s70, 1
	global_load_dword v14, v2, vcc
	s_waitcnt vmcnt(0)
	v_fma_f32 v13, -v1, v14, v13
	global_store_dword v2, v13, s[8:9]
	s_add_u32 s8, s8, 4
	s_addc_u32 s9, s9, 0
	s_cmp_lg_u32 s53, s70
	s_cbranch_scc1 .LBB3_141
; %bb.142:                              ;   in Loop: Header=BB3_138 Depth=4
	s_add_i32 s73, s73, 1
	s_add_i32 s72, s72, s11
	s_cmp_lt_i32 s73, s68
	s_cbranch_scc1 .LBB3_138
.LBB3_143:                              ;   in Loop: Header=BB3_68 Depth=3
	s_inst_prefetch 0x2
	s_or_b32 exec_lo, exec_lo, s55
	s_mov_b32 s55, s26
	s_waitcnt_vscnt null, 0x0
	s_barrier
	buffer_gl0_inv
.LBB3_144:                              ;   in Loop: Header=BB3_68 Depth=3
	v_mov_b32_e32 v1, 0
	v_bfrev_b32_e32 v15, -2
	s_and_saveexec_b32 s9, s7
	s_cbranch_execz .LBB3_148
; %bb.145:                              ;   in Loop: Header=BB3_68 Depth=3
	v_mov_b32_e32 v14, v4
	v_mov_b32_e32 v1, 0
	v_bfrev_b32_e32 v15, -2
	v_mov_b32_e32 v13, v3
	v_mov_b32_e32 v16, v0
	s_mov_b32 s26, 0
	.p2align	6
.LBB3_146:                              ;   Parent Loop BB3_12 Depth=1
                                        ;     Parent Loop BB3_21 Depth=2
                                        ;       Parent Loop BB3_68 Depth=3
                                        ; =>      This Inner Loop Header: Depth=4
	global_load_dword v17, v[13:14], off
	v_cmp_eq_u32_e32 vcc_lo, 0x7fffffff, v15
	v_add_nc_u32_e32 v18, 1, v16
	v_add_nc_u32_e32 v16, 0x100, v16
	v_add_co_u32 v13, s8, 0x400, v13
	v_add_co_ci_u32_e64 v14, null, 0, v14, s8
	v_cmp_le_u32_e64 s8, s53, v16
	s_waitcnt vmcnt(0)
	v_cmp_lt_f32_e64 s70, v1, |v17|
	s_or_b32 vcc_lo, s70, vcc_lo
	s_or_b32 s26, s8, s26
	v_cndmask_b32_e64 v1, v1, |v17|, vcc_lo
	v_cndmask_b32_e32 v15, v15, v18, vcc_lo
	s_andn2_b32 exec_lo, exec_lo, s26
	s_cbranch_execnz .LBB3_146
; %bb.147:                              ;   in Loop: Header=BB3_68 Depth=3
	s_or_b32 exec_lo, exec_lo, s26
.LBB3_148:                              ;   in Loop: Header=BB3_68 Depth=3
	s_or_b32 exec_lo, exec_lo, s9
	ds_write2st64_b32 v22, v1, v15 offset1:8
	s_waitcnt lgkmcnt(0)
	s_barrier
	buffer_gl0_inv
	s_and_saveexec_b32 s9, s1
	s_cbranch_execz .LBB3_154
; %bb.149:                              ;   in Loop: Header=BB3_68 Depth=3
	ds_read2st64_b32 v[13:14], v22 offset0:2 offset1:10
	s_mov_b32 s70, exec_lo
	s_waitcnt lgkmcnt(0)
	v_cmp_lt_f32_e64 s26, v1, v13
	v_cmpx_nlt_f32_e32 v1, v13
; %bb.150:                              ;   in Loop: Header=BB3_68 Depth=3
	v_cmp_eq_f32_e32 vcc_lo, v1, v13
	v_cmp_gt_i32_e64 s8, v15, v14
	s_andn2_b32 s26, s26, exec_lo
	s_and_b32 s8, vcc_lo, s8
	s_and_b32 s8, s8, exec_lo
	s_or_b32 s26, s26, s8
; %bb.151:                              ;   in Loop: Header=BB3_68 Depth=3
	s_or_b32 exec_lo, exec_lo, s70
	s_and_saveexec_b32 s8, s26
; %bb.152:                              ;   in Loop: Header=BB3_68 Depth=3
	v_mov_b32_e32 v15, v14
	v_mov_b32_e32 v1, v13
	ds_write2st64_b32 v22, v13, v14 offset1:8
; %bb.153:                              ;   in Loop: Header=BB3_68 Depth=3
	s_or_b32 exec_lo, exec_lo, s8
.LBB3_154:                              ;   in Loop: Header=BB3_68 Depth=3
	s_or_b32 exec_lo, exec_lo, s9
	s_waitcnt lgkmcnt(0)
	s_barrier
	buffer_gl0_inv
	s_and_saveexec_b32 s9, s2
	s_cbranch_execz .LBB3_160
; %bb.155:                              ;   in Loop: Header=BB3_68 Depth=3
	ds_read2st64_b32 v[13:14], v22 offset0:1 offset1:9
	s_mov_b32 s70, exec_lo
	s_waitcnt lgkmcnt(0)
	v_cmp_lt_f32_e64 s26, v1, v13
	v_cmpx_nlt_f32_e32 v1, v13
; %bb.156:                              ;   in Loop: Header=BB3_68 Depth=3
	v_cmp_eq_f32_e32 vcc_lo, v1, v13
	v_cmp_gt_i32_e64 s8, v15, v14
	s_andn2_b32 s26, s26, exec_lo
	s_and_b32 s8, vcc_lo, s8
	s_and_b32 s8, s8, exec_lo
	s_or_b32 s26, s26, s8
; %bb.157:                              ;   in Loop: Header=BB3_68 Depth=3
	s_or_b32 exec_lo, exec_lo, s70
	s_and_saveexec_b32 s8, s26
; %bb.158:                              ;   in Loop: Header=BB3_68 Depth=3
	v_mov_b32_e32 v15, v14
	v_mov_b32_e32 v1, v13
	ds_write2st64_b32 v22, v13, v14 offset1:8
; %bb.159:                              ;   in Loop: Header=BB3_68 Depth=3
	s_or_b32 exec_lo, exec_lo, s8
.LBB3_160:                              ;   in Loop: Header=BB3_68 Depth=3
	s_or_b32 exec_lo, exec_lo, s9
	s_waitcnt lgkmcnt(0)
	s_barrier
	buffer_gl0_inv
	s_and_saveexec_b32 s26, s3
	s_cbranch_execz .LBB3_183
; %bb.161:                              ;   in Loop: Header=BB3_68 Depth=3
	v_add_nc_u32_e32 v13, 0x80, v22
	s_mov_b32 s70, exec_lo
	ds_read2st64_b32 v[13:14], v13 offset1:8
	s_waitcnt lgkmcnt(0)
	v_cmp_lt_f32_e64 s9, v1, v13
	v_cmpx_nlt_f32_e32 v1, v13
; %bb.162:                              ;   in Loop: Header=BB3_68 Depth=3
	v_cmp_eq_f32_e32 vcc_lo, v1, v13
	v_cmp_gt_i32_e64 s8, v15, v14
	s_andn2_b32 s9, s9, exec_lo
	s_and_b32 s8, vcc_lo, s8
	s_and_b32 s8, s8, exec_lo
	s_or_b32 s9, s9, s8
; %bb.163:                              ;   in Loop: Header=BB3_68 Depth=3
	s_or_b32 exec_lo, exec_lo, s70
	s_and_saveexec_b32 s8, s9
; %bb.164:                              ;   in Loop: Header=BB3_68 Depth=3
	v_mov_b32_e32 v1, v13
	v_mov_b32_e32 v15, v14
	ds_write2st64_b32 v22, v13, v14 offset1:8
; %bb.165:                              ;   in Loop: Header=BB3_68 Depth=3
	s_or_b32 exec_lo, exec_lo, s8
	v_add_nc_u32_e32 v13, 64, v22
	s_mov_b32 s70, exec_lo
	ds_read2st64_b32 v[13:14], v13 offset1:8
	s_waitcnt lgkmcnt(0)
	v_cmp_lt_f32_e64 s9, v1, v13
	v_cmpx_nlt_f32_e32 v1, v13
; %bb.166:                              ;   in Loop: Header=BB3_68 Depth=3
	v_cmp_eq_f32_e32 vcc_lo, v1, v13
	v_cmp_gt_i32_e64 s8, v15, v14
	s_andn2_b32 s9, s9, exec_lo
	s_and_b32 s8, vcc_lo, s8
	s_and_b32 s8, s8, exec_lo
	s_or_b32 s9, s9, s8
; %bb.167:                              ;   in Loop: Header=BB3_68 Depth=3
	s_or_b32 exec_lo, exec_lo, s70
	s_and_saveexec_b32 s8, s9
; %bb.168:                              ;   in Loop: Header=BB3_68 Depth=3
	v_mov_b32_e32 v1, v13
	v_mov_b32_e32 v15, v14
	ds_write2st64_b32 v22, v13, v14 offset1:8
; %bb.169:                              ;   in Loop: Header=BB3_68 Depth=3
	s_or_b32 exec_lo, exec_lo, s8
	;; [unrolled: 22-line block ×5, first 2 shown]
	v_add_nc_u32_e32 v13, 4, v22
	ds_read2st64_b32 v[13:14], v13 offset1:8
	s_waitcnt lgkmcnt(0)
	v_cmp_eq_f32_e32 vcc_lo, v1, v13
	v_cmp_gt_i32_e64 s8, v15, v14
	v_cmp_lt_f32_e64 s9, v1, v13
	s_and_b32 s8, vcc_lo, s8
	s_or_b32 s8, s9, s8
	s_and_b32 exec_lo, exec_lo, s8
; %bb.182:                              ;   in Loop: Header=BB3_68 Depth=3
	ds_write2st64_b32 v22, v13, v14 offset1:8
.LBB3_183:                              ;   in Loop: Header=BB3_68 Depth=3
	s_or_b32 exec_lo, exec_lo, s26
	s_waitcnt lgkmcnt(0)
	s_barrier
	buffer_gl0_inv
	ds_read_b32 v1, v26
	s_add_i32 s8, s76, 1
	s_waitcnt lgkmcnt(0)
	v_cmp_ge_f32_e32 vcc_lo, v1, v29
	v_cndmask_b32_e64 v1, 0, 1, vcc_lo
	v_readfirstlane_b32 s9, v1
	s_add_i32 s75, s75, s9
	s_cmp_lt_u32 s76, 4
	s_cselect_b32 s26, -1, 0
	s_cmp_lt_u32 s75, 2
	s_cselect_b32 s9, -1, 0
	s_and_b32 s26, s26, s9
	s_and_b32 vcc_lo, exec_lo, s26
	s_cbranch_vccz .LBB3_185
; %bb.184:                              ;   in Loop: Header=BB3_68 Depth=3
	s_mov_b32 s76, s8
	v_mov_b32_e32 v1, 0
	v_bfrev_b32_e32 v15, -2
	s_and_saveexec_b32 s9, s7
	s_cbranch_execnz .LBB3_65
	s_branch .LBB3_68
.LBB3_185:                              ;   in Loop: Header=BB3_21 Depth=2
	s_and_b32 s9, s29, s9
	s_and_saveexec_b32 s8, s9
	s_cbranch_execz .LBB3_187
; %bb.186:                              ;   in Loop: Header=BB3_21 Depth=2
	ds_read_b32 v13, v2
	s_add_i32 s9, s68, 1
	v_mov_b32_e32 v1, s9
	s_waitcnt lgkmcnt(0)
	v_ashrrev_i32_e32 v14, 31, v13
	v_lshlrev_b64 v[14:15], 2, v[13:14]
	v_add_nc_u32_e32 v13, 1, v13
	ds_write_b32 v2, v13
	v_add_co_u32 v14, vcc_lo, s48, v14
	v_add_co_ci_u32_e64 v15, null, s49, v15, vcc_lo
	global_store_dword v[14:15], v1, off
.LBB3_187:                              ;   in Loop: Header=BB3_21 Depth=2
	s_or_b32 exec_lo, exec_lo, s8
	v_mov_b32_e32 v1, 0
	v_bfrev_b32_e32 v15, -2
	s_and_saveexec_b32 s9, s7
	s_cbranch_execz .LBB3_191
; %bb.188:                              ;   in Loop: Header=BB3_21 Depth=2
	v_mov_b32_e32 v14, v4
	v_mov_b32_e32 v1, 0
	v_bfrev_b32_e32 v15, -2
	v_mov_b32_e32 v13, v3
	v_mov_b32_e32 v16, v0
	s_mov_b32 s26, 0
	.p2align	6
.LBB3_189:                              ;   Parent Loop BB3_12 Depth=1
                                        ;     Parent Loop BB3_21 Depth=2
                                        ; =>    This Inner Loop Header: Depth=3
	global_load_dword v17, v[13:14], off
	v_cmp_eq_u32_e32 vcc_lo, 0x7fffffff, v15
	v_add_nc_u32_e32 v18, 1, v16
	v_add_nc_u32_e32 v16, 0x100, v16
	v_add_co_u32 v13, s8, 0x400, v13
	v_add_co_ci_u32_e64 v14, null, 0, v14, s8
	v_cmp_le_u32_e64 s8, s53, v16
	s_waitcnt vmcnt(0)
	v_cmp_lt_f32_e64 s69, v1, |v17|
	s_or_b32 vcc_lo, s69, vcc_lo
	s_or_b32 s26, s8, s26
	v_cndmask_b32_e64 v1, v1, |v17|, vcc_lo
	v_cndmask_b32_e32 v15, v15, v18, vcc_lo
	s_andn2_b32 exec_lo, exec_lo, s26
	s_cbranch_execnz .LBB3_189
; %bb.190:                              ;   in Loop: Header=BB3_21 Depth=2
	s_or_b32 exec_lo, exec_lo, s26
.LBB3_191:                              ;   in Loop: Header=BB3_21 Depth=2
	s_or_b32 exec_lo, exec_lo, s9
	ds_write2st64_b32 v22, v1, v15 offset1:8
	s_waitcnt lgkmcnt(0)
	s_waitcnt_vscnt null, 0x0
	s_barrier
	buffer_gl0_inv
	s_and_saveexec_b32 s9, s1
	s_cbranch_execz .LBB3_197
; %bb.192:                              ;   in Loop: Header=BB3_21 Depth=2
	ds_read2st64_b32 v[13:14], v22 offset0:2 offset1:10
	s_mov_b32 s69, exec_lo
	s_waitcnt lgkmcnt(0)
	v_cmp_lt_f32_e64 s26, v1, v13
	v_cmpx_nlt_f32_e32 v1, v13
; %bb.193:                              ;   in Loop: Header=BB3_21 Depth=2
	v_cmp_eq_f32_e32 vcc_lo, v1, v13
	v_cmp_gt_i32_e64 s8, v15, v14
	s_andn2_b32 s26, s26, exec_lo
	s_and_b32 s8, vcc_lo, s8
	s_and_b32 s8, s8, exec_lo
	s_or_b32 s26, s26, s8
; %bb.194:                              ;   in Loop: Header=BB3_21 Depth=2
	s_or_b32 exec_lo, exec_lo, s69
	s_and_saveexec_b32 s8, s26
; %bb.195:                              ;   in Loop: Header=BB3_21 Depth=2
	v_mov_b32_e32 v15, v14
	v_mov_b32_e32 v1, v13
	ds_write2st64_b32 v22, v13, v14 offset1:8
; %bb.196:                              ;   in Loop: Header=BB3_21 Depth=2
	s_or_b32 exec_lo, exec_lo, s8
.LBB3_197:                              ;   in Loop: Header=BB3_21 Depth=2
	s_or_b32 exec_lo, exec_lo, s9
	s_waitcnt lgkmcnt(0)
	s_barrier
	buffer_gl0_inv
	s_and_saveexec_b32 s9, s2
	s_cbranch_execz .LBB3_203
; %bb.198:                              ;   in Loop: Header=BB3_21 Depth=2
	ds_read2st64_b32 v[13:14], v22 offset0:1 offset1:9
	s_mov_b32 s69, exec_lo
	s_waitcnt lgkmcnt(0)
	v_cmp_lt_f32_e64 s26, v1, v13
	v_cmpx_nlt_f32_e32 v1, v13
; %bb.199:                              ;   in Loop: Header=BB3_21 Depth=2
	v_cmp_eq_f32_e32 vcc_lo, v1, v13
	v_cmp_gt_i32_e64 s8, v15, v14
	s_andn2_b32 s26, s26, exec_lo
	s_and_b32 s8, vcc_lo, s8
	s_and_b32 s8, s8, exec_lo
	s_or_b32 s26, s26, s8
; %bb.200:                              ;   in Loop: Header=BB3_21 Depth=2
	s_or_b32 exec_lo, exec_lo, s69
	s_and_saveexec_b32 s8, s26
; %bb.201:                              ;   in Loop: Header=BB3_21 Depth=2
	v_mov_b32_e32 v15, v14
	v_mov_b32_e32 v1, v13
	ds_write2st64_b32 v22, v13, v14 offset1:8
; %bb.202:                              ;   in Loop: Header=BB3_21 Depth=2
	s_or_b32 exec_lo, exec_lo, s8
.LBB3_203:                              ;   in Loop: Header=BB3_21 Depth=2
	s_or_b32 exec_lo, exec_lo, s9
	s_waitcnt lgkmcnt(0)
	s_barrier
	buffer_gl0_inv
	s_and_saveexec_b32 s26, s3
	s_cbranch_execz .LBB3_226
; %bb.204:                              ;   in Loop: Header=BB3_21 Depth=2
	v_add_nc_u32_e32 v13, 0x80, v22
	s_mov_b32 s69, exec_lo
	ds_read2st64_b32 v[13:14], v13 offset1:8
	s_waitcnt lgkmcnt(0)
	v_cmp_lt_f32_e64 s9, v1, v13
	v_cmpx_nlt_f32_e32 v1, v13
; %bb.205:                              ;   in Loop: Header=BB3_21 Depth=2
	v_cmp_eq_f32_e32 vcc_lo, v1, v13
	v_cmp_gt_i32_e64 s8, v15, v14
	s_andn2_b32 s9, s9, exec_lo
	s_and_b32 s8, vcc_lo, s8
	s_and_b32 s8, s8, exec_lo
	s_or_b32 s9, s9, s8
; %bb.206:                              ;   in Loop: Header=BB3_21 Depth=2
	s_or_b32 exec_lo, exec_lo, s69
	s_and_saveexec_b32 s8, s9
; %bb.207:                              ;   in Loop: Header=BB3_21 Depth=2
	v_mov_b32_e32 v1, v13
	v_mov_b32_e32 v15, v14
	ds_write2st64_b32 v22, v13, v14 offset1:8
; %bb.208:                              ;   in Loop: Header=BB3_21 Depth=2
	s_or_b32 exec_lo, exec_lo, s8
	v_add_nc_u32_e32 v13, 64, v22
	s_mov_b32 s69, exec_lo
	ds_read2st64_b32 v[13:14], v13 offset1:8
	s_waitcnt lgkmcnt(0)
	v_cmp_lt_f32_e64 s9, v1, v13
	v_cmpx_nlt_f32_e32 v1, v13
; %bb.209:                              ;   in Loop: Header=BB3_21 Depth=2
	v_cmp_eq_f32_e32 vcc_lo, v1, v13
	v_cmp_gt_i32_e64 s8, v15, v14
	s_andn2_b32 s9, s9, exec_lo
	s_and_b32 s8, vcc_lo, s8
	s_and_b32 s8, s8, exec_lo
	s_or_b32 s9, s9, s8
; %bb.210:                              ;   in Loop: Header=BB3_21 Depth=2
	s_or_b32 exec_lo, exec_lo, s69
	s_and_saveexec_b32 s8, s9
; %bb.211:                              ;   in Loop: Header=BB3_21 Depth=2
	v_mov_b32_e32 v1, v13
	v_mov_b32_e32 v15, v14
	ds_write2st64_b32 v22, v13, v14 offset1:8
; %bb.212:                              ;   in Loop: Header=BB3_21 Depth=2
	s_or_b32 exec_lo, exec_lo, s8
	;; [unrolled: 22-line block ×5, first 2 shown]
	v_add_nc_u32_e32 v13, 4, v22
	ds_read2st64_b32 v[13:14], v13 offset1:8
	s_waitcnt lgkmcnt(0)
	v_cmp_eq_f32_e32 vcc_lo, v1, v13
	v_cmp_gt_i32_e64 s8, v15, v14
	v_cmp_lt_f32_e64 s9, v1, v13
	s_and_b32 s8, vcc_lo, s8
	s_or_b32 s8, s9, s8
	s_and_b32 exec_lo, exec_lo, s8
; %bb.225:                              ;   in Loop: Header=BB3_21 Depth=2
	ds_write2st64_b32 v22, v13, v14 offset1:8
.LBB3_226:                              ;   in Loop: Header=BB3_21 Depth=2
	s_or_b32 exec_lo, exec_lo, s26
	v_mov_b32_e32 v1, 0
	s_and_saveexec_b32 s9, s7
	s_cbranch_execz .LBB3_230
; %bb.227:                              ;   in Loop: Header=BB3_21 Depth=2
	v_mov_b32_e32 v14, v4
	v_mov_b32_e32 v1, 0
	;; [unrolled: 1-line block ×4, first 2 shown]
	s_mov_b32 s26, 0
.LBB3_228:                              ;   Parent Loop BB3_12 Depth=1
                                        ;     Parent Loop BB3_21 Depth=2
                                        ; =>    This Inner Loop Header: Depth=3
	global_load_dword v16, v[13:14], off
	v_add_nc_u32_e32 v15, 0x100, v15
	v_add_co_u32 v13, vcc_lo, 0x400, v13
	v_add_co_ci_u32_e64 v14, null, 0, v14, vcc_lo
	v_cmp_le_u32_e64 s8, s53, v15
	s_or_b32 s26, s8, s26
	s_waitcnt vmcnt(0)
	v_fmac_f32_e32 v1, v16, v16
	s_andn2_b32 exec_lo, exec_lo, s26
	s_cbranch_execnz .LBB3_228
; %bb.229:                              ;   in Loop: Header=BB3_21 Depth=2
	s_or_b32 exec_lo, exec_lo, s26
.LBB3_230:                              ;   in Loop: Header=BB3_21 Depth=2
	s_or_b32 exec_lo, exec_lo, s9
	ds_write_b32 v22, v1 offset:1024
	s_waitcnt lgkmcnt(0)
	s_barrier
	buffer_gl0_inv
	s_and_saveexec_b32 s8, s1
	s_cbranch_execz .LBB3_232
; %bb.231:                              ;   in Loop: Header=BB3_21 Depth=2
	ds_read_b32 v13, v22 offset:1536
	s_waitcnt lgkmcnt(0)
	v_add_f32_e32 v1, v1, v13
.LBB3_232:                              ;   in Loop: Header=BB3_21 Depth=2
	s_or_b32 exec_lo, exec_lo, s8
	s_barrier
	buffer_gl0_inv
	s_and_saveexec_b32 s8, s1
; %bb.233:                              ;   in Loop: Header=BB3_21 Depth=2
	ds_write_b32 v22, v1 offset:1024
; %bb.234:                              ;   in Loop: Header=BB3_21 Depth=2
	s_or_b32 exec_lo, exec_lo, s8
	s_waitcnt lgkmcnt(0)
	s_barrier
	buffer_gl0_inv
	s_and_saveexec_b32 s8, s2
	s_cbranch_execz .LBB3_236
; %bb.235:                              ;   in Loop: Header=BB3_21 Depth=2
	ds_read_b32 v13, v22 offset:1280
	s_waitcnt lgkmcnt(0)
	v_add_f32_e32 v1, v1, v13
.LBB3_236:                              ;   in Loop: Header=BB3_21 Depth=2
	s_or_b32 exec_lo, exec_lo, s8
	s_barrier
	buffer_gl0_inv
	s_and_saveexec_b32 s8, s2
; %bb.237:                              ;   in Loop: Header=BB3_21 Depth=2
	ds_write_b32 v22, v1 offset:1024
; %bb.238:                              ;   in Loop: Header=BB3_21 Depth=2
	s_or_b32 exec_lo, exec_lo, s8
	s_waitcnt lgkmcnt(0)
	s_barrier
	buffer_gl0_inv
	s_and_saveexec_b32 s8, s3
	s_cbranch_execz .LBB3_240
; %bb.239:                              ;   in Loop: Header=BB3_21 Depth=2
	v_add_nc_u32_e32 v1, 0x400, v22
	ds_read2_b32 v[13:14], v1 offset1:32
	s_waitcnt lgkmcnt(0)
	v_add_f32_e32 v13, v13, v14
	ds_write_b32 v22, v13 offset:1024
	s_waitcnt lgkmcnt(0)
	buffer_gl1_inv
	buffer_gl0_inv
	ds_read2_b32 v[13:14], v1 offset1:16
	s_waitcnt lgkmcnt(0)
	v_add_f32_e32 v13, v13, v14
	ds_write_b32 v22, v13 offset:1024
	s_waitcnt lgkmcnt(0)
	buffer_gl1_inv
	buffer_gl0_inv
	;; [unrolled: 7-line block ×4, first 2 shown]
	ds_read2_b32 v[13:14], v1 offset1:2
	s_waitcnt lgkmcnt(0)
	v_add_f32_e32 v1, v13, v14
	v_add_nc_u32_e32 v13, 0x400, v22
	ds_write_b32 v22, v1 offset:1024
	s_waitcnt lgkmcnt(0)
	buffer_gl1_inv
	buffer_gl0_inv
	ds_read2_b32 v[13:14], v13 offset1:1
	s_waitcnt lgkmcnt(0)
	v_add_f32_e32 v1, v13, v14
	ds_write_b32 v22, v1 offset:1024
	s_waitcnt lgkmcnt(0)
	buffer_gl1_inv
	buffer_gl0_inv
.LBB3_240:                              ;   in Loop: Header=BB3_21 Depth=2
	s_or_b32 exec_lo, exec_lo, s8
	s_and_saveexec_b32 s9, s0
	s_cbranch_execz .LBB3_242
; %bb.241:                              ;   in Loop: Header=BB3_21 Depth=2
	ds_read_b32 v1, v26 offset:1024
	s_waitcnt lgkmcnt(0)
	v_mul_f32_e32 v13, 0x4f800000, v1
	v_cmp_gt_f32_e32 vcc_lo, 0xf800000, v1
	v_cndmask_b32_e32 v1, v1, v13, vcc_lo
	v_sqrt_f32_e32 v13, v1
	v_add_nc_u32_e32 v14, -1, v13
	v_add_nc_u32_e32 v15, 1, v13
	v_fma_f32 v16, -v14, v13, v1
	v_fma_f32 v17, -v15, v13, v1
	v_cmp_ge_f32_e64 s8, 0, v16
	v_cndmask_b32_e64 v13, v13, v14, s8
	v_cmp_lt_f32_e64 s8, 0, v17
	v_cndmask_b32_e64 v13, v13, v15, s8
	v_mul_f32_e32 v14, 0x37800000, v13
	v_cndmask_b32_e32 v13, v13, v14, vcc_lo
	v_cmp_class_f32_e64 vcc_lo, v1, 0x260
	v_cndmask_b32_e32 v1, v13, v1, vcc_lo
	ds_write_b32 v26, v1 offset:1024
.LBB3_242:                              ;   in Loop: Header=BB3_21 Depth=2
	s_or_b32 exec_lo, exec_lo, s9
	s_waitcnt lgkmcnt(0)
	s_barrier
	buffer_gl0_inv
	ds_read2st64_b32 v[13:14], v26 offset0:4 offset1:8
	s_waitcnt lgkmcnt(0)
	v_ashrrev_i32_e32 v15, 31, v14
	v_lshlrev_b64 v[14:15], 2, v[14:15]
	v_add_co_u32 v14, vcc_lo, s12, v14
	v_add_co_ci_u32_e64 v15, null, s13, v15, vcc_lo
	global_load_dword v1, v[14:15], off offset:-4
	s_waitcnt vmcnt(0)
	s_barrier
	buffer_gl0_inv
	s_and_saveexec_b32 s9, s5
	s_cbranch_execz .LBB3_245
; %bb.243:                              ;   in Loop: Header=BB3_21 Depth=2
	v_cmp_nle_f32_e32 vcc_lo, 0, v1
	s_mov_b32 s26, 0
	v_cndmask_b32_e64 v1, 1.0, -1.0, vcc_lo
	v_div_scale_f32 v14, null, v13, v13, v1
	v_div_scale_f32 v17, vcc_lo, v1, v13, v1
	v_rcp_f32_e32 v15, v14
	v_fma_f32 v16, -v14, v15, 1.0
	v_fmac_f32_e32 v15, v16, v15
	v_mul_f32_e32 v16, v17, v15
	v_fma_f32 v18, -v14, v16, v17
	v_fmac_f32_e32 v16, v18, v15
	v_fma_f32 v14, -v14, v16, v17
	v_div_fmas_f32 v16, v14, v15, v16
	v_mov_b32_e32 v15, v4
	v_mov_b32_e32 v14, v3
	v_div_fixup_f32 v1, v16, v13, v1
	v_mov_b32_e32 v13, v0
.LBB3_244:                              ;   Parent Loop BB3_12 Depth=1
                                        ;     Parent Loop BB3_21 Depth=2
                                        ; =>    This Inner Loop Header: Depth=3
	global_load_dword v16, v[14:15], off
	v_add_nc_u32_e32 v13, 0x100, v13
	v_cmp_lt_i32_e32 vcc_lo, s58, v13
	s_or_b32 s26, vcc_lo, s26
	s_waitcnt vmcnt(0)
	v_mul_f32_e32 v16, v1, v16
	global_store_dword v[14:15], v16, off
	v_add_co_u32 v14, s8, 0x400, v14
	v_add_co_ci_u32_e64 v15, null, 0, v15, s8
	s_andn2_b32 exec_lo, exec_lo, s26
	s_cbranch_execnz .LBB3_244
.LBB3_245:                              ;   in Loop: Header=BB3_21 Depth=2
	s_or_b32 exec_lo, exec_lo, s9
	s_waitcnt_vscnt null, 0x0
	s_barrier
	buffer_gl0_inv
	s_and_saveexec_b32 s9, s4
	s_cbranch_execz .LBB3_250
.LBB3_246:                              ;   in Loop: Header=BB3_21 Depth=2
	v_mov_b32_e32 v13, v0
	s_mov_b32 s26, 0
	s_inst_prefetch 0x1
	s_branch .LBB3_248
	.p2align	6
.LBB3_247:                              ;   in Loop: Header=BB3_248 Depth=3
	s_or_b32 exec_lo, exec_lo, s8
	v_add_nc_u32_e32 v14, s98, v13
	v_add_nc_u32_e32 v13, 0x100, v13
	v_ashrrev_i32_e32 v15, 31, v14
	v_cmp_le_i32_e32 vcc_lo, s28, v13
	v_lshlrev_b64 v[14:15], 3, v[14:15]
	s_or_b32 s26, vcc_lo, s26
	v_add_co_u32 v14, s8, s10, v14
	v_add_co_ci_u32_e64 v15, null, s86, v15, s8
	s_waitcnt vmcnt(0)
	global_store_dwordx2 v[14:15], v[1:2], off
	s_andn2_b32 exec_lo, exec_lo, s26
	s_cbranch_execz .LBB3_250
.LBB3_248:                              ;   Parent Loop BB3_12 Depth=1
                                        ;     Parent Loop BB3_21 Depth=2
                                        ; =>    This Inner Loop Header: Depth=3
	v_cmp_le_i32_e32 vcc_lo, s54, v13
	v_cmp_gt_i32_e64 s8, s56, v13
	v_mov_b32_e32 v1, 0
	s_and_b32 s69, vcc_lo, s8
	s_and_saveexec_b32 s8, s69
	s_cbranch_execz .LBB3_247
; %bb.249:                              ;   in Loop: Header=BB3_248 Depth=3
	v_add_nc_u32_e32 v1, s96, v13
	v_lshlrev_b64 v[14:15], 2, v[1:2]
	v_add_co_u32 v14, vcc_lo, s12, v14
	v_add_co_ci_u32_e64 v15, null, s13, v15, vcc_lo
	global_load_dword v1, v[14:15], off
	s_branch .LBB3_247
.LBB3_250:                              ;   in Loop: Header=BB3_21 Depth=2
	s_inst_prefetch 0x2
	s_or_b32 exec_lo, exec_lo, s9
	s_add_i32 s68, s68, 1
	s_add_i32 s97, s97, 1
	;; [unrolled: 1-line block ×3, first 2 shown]
	s_cmp_ge_i32 s68, s16
	s_waitcnt_vscnt null, 0x0
	s_barrier
	s_cselect_b32 s26, -1, 0
	s_mov_b32 s8, s93
	buffer_gl0_inv
	s_and_b32 vcc_lo, exec_lo, s26
	s_cbranch_vccnz .LBB3_10
.LBB3_251:                              ;   in Loop: Header=BB3_21 Depth=2
	v_mov_b32_e32 v1, v28
	s_branch .LBB3_21
.LBB3_252:
	s_and_saveexec_b32 s1, s0
	s_cbranch_execz .LBB3_254
; %bb.253:
	v_mov_b32_e32 v0, 0
	s_add_u32 s0, s30, s34
	s_addc_u32 s1, s31, s35
	ds_read_b32 v1, v0
	s_waitcnt lgkmcnt(0)
	global_store_dword v0, v1, s[0:1]
.LBB3_254:
	s_endpgm
	.section	.rodata,"a",@progbits
	.p2align	6, 0x0
	.amdhsa_kernel _ZN9rocsolver6v33100L12stein_kernelI19rocblas_complex_numIfEfPS3_EEviPT0_lS6_lPiS6_lS7_lS7_lT1_iilS7_lS7_S6_S7_S5_S5_
		.amdhsa_group_segment_fixed_size 8
		.amdhsa_private_segment_fixed_size 0
		.amdhsa_kernarg_size 168
		.amdhsa_user_sgpr_count 6
		.amdhsa_user_sgpr_private_segment_buffer 1
		.amdhsa_user_sgpr_dispatch_ptr 0
		.amdhsa_user_sgpr_queue_ptr 0
		.amdhsa_user_sgpr_kernarg_segment_ptr 1
		.amdhsa_user_sgpr_dispatch_id 0
		.amdhsa_user_sgpr_flat_scratch_init 0
		.amdhsa_user_sgpr_private_segment_size 0
		.amdhsa_wavefront_size32 1
		.amdhsa_uses_dynamic_stack 0
		.amdhsa_system_sgpr_private_segment_wavefront_offset 0
		.amdhsa_system_sgpr_workgroup_id_x 1
		.amdhsa_system_sgpr_workgroup_id_y 1
		.amdhsa_system_sgpr_workgroup_id_z 0
		.amdhsa_system_sgpr_workgroup_info 0
		.amdhsa_system_vgpr_workitem_id 0
		.amdhsa_next_free_vgpr 40
		.amdhsa_next_free_sgpr 105
		.amdhsa_reserve_vcc 1
		.amdhsa_reserve_flat_scratch 0
		.amdhsa_float_round_mode_32 0
		.amdhsa_float_round_mode_16_64 0
		.amdhsa_float_denorm_mode_32 3
		.amdhsa_float_denorm_mode_16_64 3
		.amdhsa_dx10_clamp 1
		.amdhsa_ieee_mode 1
		.amdhsa_fp16_overflow 0
		.amdhsa_workgroup_processor_mode 1
		.amdhsa_memory_ordered 1
		.amdhsa_forward_progress 1
		.amdhsa_shared_vgpr_count 0
		.amdhsa_exception_fp_ieee_invalid_op 0
		.amdhsa_exception_fp_denorm_src 0
		.amdhsa_exception_fp_ieee_div_zero 0
		.amdhsa_exception_fp_ieee_overflow 0
		.amdhsa_exception_fp_ieee_underflow 0
		.amdhsa_exception_fp_ieee_inexact 0
		.amdhsa_exception_int_div_zero 0
	.end_amdhsa_kernel
	.section	.text._ZN9rocsolver6v33100L12stein_kernelI19rocblas_complex_numIfEfPS3_EEviPT0_lS6_lPiS6_lS7_lS7_lT1_iilS7_lS7_S6_S7_S5_S5_,"axG",@progbits,_ZN9rocsolver6v33100L12stein_kernelI19rocblas_complex_numIfEfPS3_EEviPT0_lS6_lPiS6_lS7_lS7_lT1_iilS7_lS7_S6_S7_S5_S5_,comdat
.Lfunc_end3:
	.size	_ZN9rocsolver6v33100L12stein_kernelI19rocblas_complex_numIfEfPS3_EEviPT0_lS6_lPiS6_lS7_lS7_lT1_iilS7_lS7_S6_S7_S5_S5_, .Lfunc_end3-_ZN9rocsolver6v33100L12stein_kernelI19rocblas_complex_numIfEfPS3_EEviPT0_lS6_lPiS6_lS7_lS7_lT1_iilS7_lS7_S6_S7_S5_S5_
                                        ; -- End function
	.set _ZN9rocsolver6v33100L12stein_kernelI19rocblas_complex_numIfEfPS3_EEviPT0_lS6_lPiS6_lS7_lS7_lT1_iilS7_lS7_S6_S7_S5_S5_.num_vgpr, 40
	.set _ZN9rocsolver6v33100L12stein_kernelI19rocblas_complex_numIfEfPS3_EEviPT0_lS6_lPiS6_lS7_lS7_lT1_iilS7_lS7_S6_S7_S5_S5_.num_agpr, 0
	.set _ZN9rocsolver6v33100L12stein_kernelI19rocblas_complex_numIfEfPS3_EEviPT0_lS6_lPiS6_lS7_lS7_lT1_iilS7_lS7_S6_S7_S5_S5_.numbered_sgpr, 105
	.set _ZN9rocsolver6v33100L12stein_kernelI19rocblas_complex_numIfEfPS3_EEviPT0_lS6_lPiS6_lS7_lS7_lT1_iilS7_lS7_S6_S7_S5_S5_.num_named_barrier, 0
	.set _ZN9rocsolver6v33100L12stein_kernelI19rocblas_complex_numIfEfPS3_EEviPT0_lS6_lPiS6_lS7_lS7_lT1_iilS7_lS7_S6_S7_S5_S5_.private_seg_size, 0
	.set _ZN9rocsolver6v33100L12stein_kernelI19rocblas_complex_numIfEfPS3_EEviPT0_lS6_lPiS6_lS7_lS7_lT1_iilS7_lS7_S6_S7_S5_S5_.uses_vcc, 1
	.set _ZN9rocsolver6v33100L12stein_kernelI19rocblas_complex_numIfEfPS3_EEviPT0_lS6_lPiS6_lS7_lS7_lT1_iilS7_lS7_S6_S7_S5_S5_.uses_flat_scratch, 0
	.set _ZN9rocsolver6v33100L12stein_kernelI19rocblas_complex_numIfEfPS3_EEviPT0_lS6_lPiS6_lS7_lS7_lT1_iilS7_lS7_S6_S7_S5_S5_.has_dyn_sized_stack, 0
	.set _ZN9rocsolver6v33100L12stein_kernelI19rocblas_complex_numIfEfPS3_EEviPT0_lS6_lPiS6_lS7_lS7_lT1_iilS7_lS7_S6_S7_S5_S5_.has_recursion, 0
	.set _ZN9rocsolver6v33100L12stein_kernelI19rocblas_complex_numIfEfPS3_EEviPT0_lS6_lPiS6_lS7_lS7_lT1_iilS7_lS7_S6_S7_S5_S5_.has_indirect_call, 0
	.section	.AMDGPU.csdata,"",@progbits
; Kernel info:
; codeLenInByte = 9720
; TotalNumSgprs: 107
; NumVgprs: 40
; ScratchSize: 0
; MemoryBound: 0
; FloatMode: 240
; IeeeMode: 1
; LDSByteSize: 8 bytes/workgroup (compile time only)
; SGPRBlocks: 0
; VGPRBlocks: 4
; NumSGPRsForWavesPerEU: 107
; NumVGPRsForWavesPerEU: 40
; Occupancy: 16
; WaveLimiterHint : 1
; COMPUTE_PGM_RSRC2:SCRATCH_EN: 0
; COMPUTE_PGM_RSRC2:USER_SGPR: 6
; COMPUTE_PGM_RSRC2:TRAP_HANDLER: 0
; COMPUTE_PGM_RSRC2:TGID_X_EN: 1
; COMPUTE_PGM_RSRC2:TGID_Y_EN: 1
; COMPUTE_PGM_RSRC2:TGID_Z_EN: 0
; COMPUTE_PGM_RSRC2:TIDIG_COMP_CNT: 0
	.section	.text._ZN9rocsolver6v33100L12stein_kernelI19rocblas_complex_numIdEdPS3_EEviPT0_lS6_lPiS6_lS7_lS7_lT1_iilS7_lS7_S6_S7_S5_S5_,"axG",@progbits,_ZN9rocsolver6v33100L12stein_kernelI19rocblas_complex_numIdEdPS3_EEviPT0_lS6_lPiS6_lS7_lS7_lT1_iilS7_lS7_S6_S7_S5_S5_,comdat
	.globl	_ZN9rocsolver6v33100L12stein_kernelI19rocblas_complex_numIdEdPS3_EEviPT0_lS6_lPiS6_lS7_lS7_lT1_iilS7_lS7_S6_S7_S5_S5_ ; -- Begin function _ZN9rocsolver6v33100L12stein_kernelI19rocblas_complex_numIdEdPS3_EEviPT0_lS6_lPiS6_lS7_lS7_lT1_iilS7_lS7_S6_S7_S5_S5_
	.p2align	8
	.type	_ZN9rocsolver6v33100L12stein_kernelI19rocblas_complex_numIdEdPS3_EEviPT0_lS6_lPiS6_lS7_lS7_lT1_iilS7_lS7_S6_S7_S5_S5_,@function
_ZN9rocsolver6v33100L12stein_kernelI19rocblas_complex_numIdEdPS3_EEviPT0_lS6_lPiS6_lS7_lS7_lT1_iilS7_lS7_S6_S7_S5_S5_: ; @_ZN9rocsolver6v33100L12stein_kernelI19rocblas_complex_numIdEdPS3_EEviPT0_lS6_lPiS6_lS7_lS7_lT1_iilS7_lS7_S6_S7_S5_S5_
; %bb.0:
	s_load_dwordx16 s[36:51], s[4:5], 0x8
	s_mov_b32 s6, s7
	s_ashr_i32 s7, s7, 31
	s_lshl_b64 s[2:3], s[6:7], 2
	s_waitcnt lgkmcnt(0)
	s_add_u32 s0, s44, s2
	s_addc_u32 s1, s45, s3
	s_load_dword s44, s[0:1], 0x0
	s_waitcnt lgkmcnt(0)
	s_cmp_lt_i32 s44, 1
	s_cbranch_scc1 .LBB4_256
; %bb.1:
	s_load_dwordx16 s[8:23], s[4:5], 0x70
                                        ; implicit-def: $vgpr58 : SGPR spill to VGPR lane
	s_mov_b64 s[52:53], 0
	v_writelane_b32 v58, s2, 0
	v_writelane_b32 v58, s3, 1
	s_waitcnt lgkmcnt(0)
	s_cmp_eq_u64 s[10:11], 0
	s_cbranch_scc1 .LBB4_3
; %bb.2:
	s_mul_i32 s0, s12, s7
	s_mul_hi_u32 s1, s12, s6
	s_mul_i32 s2, s13, s6
	s_add_i32 s0, s1, s0
	s_add_i32 s1, s0, s2
	s_mul_i32 s0, s12, s6
	s_lshl_b64 s[0:1], s[0:1], 2
	s_add_u32 s52, s10, s0
	s_addc_u32 s53, s11, s1
.LBB4_3:
	v_cmp_eq_u32_e64 s0, 0, v0
	s_and_saveexec_b32 s1, s0
; %bb.4:
	v_mov_b32_e32 v1, 0
	ds_write_b32 v1, v1
; %bb.5:
	s_or_b32 exec_lo, exec_lo, s1
	v_cmp_gt_u32_e32 vcc_lo, s44, v0
	s_cmp_lg_u64 s[52:53], 0
	v_lshlrev_b32_e32 v45, 2, v0
	s_cselect_b32 s10, -1, 0
	s_and_b32 s1, vcc_lo, s10
	s_and_saveexec_b32 s2, s1
	s_cbranch_execz .LBB4_8
; %bb.6:
	v_add_co_u32 v1, s1, s52, v45
	v_mov_b32_e32 v3, 0
	v_add_co_ci_u32_e64 v2, null, s53, 0, s1
	v_mov_b32_e32 v4, v0
	s_mov_b32 s3, 0
.LBB4_7:                                ; =>This Inner Loop Header: Depth=1
	v_add_nc_u32_e32 v4, 0x100, v4
	global_store_dword v[1:2], v3, off
	v_add_co_u32 v1, s1, 0x400, v1
	v_add_co_ci_u32_e64 v2, null, 0, v2, s1
	v_cmp_le_i32_e32 vcc_lo, s44, v4
	s_or_b32 s3, vcc_lo, s3
	s_andn2_b32 exec_lo, exec_lo, s3
	s_cbranch_execnz .LBB4_7
.LBB4_8:
	s_or_b32 exec_lo, exec_lo, s2
	s_load_dwordx8 s[24:31], s[4:5], 0x48
	s_mov_b32 s11, 0
	v_mov_b32_e32 v3, 0
	s_mov_b32 s45, s11
	s_waitcnt lgkmcnt(0)
	s_mul_i32 s1, s24, s7
	s_mul_hi_u32 s2, s24, s6
	s_mul_i32 s3, s25, s6
	s_add_i32 s1, s2, s1
	s_mul_i32 s2, s24, s6
	s_add_i32 s3, s1, s3
	s_lshl_b64 s[2:3], s[2:3], 2
	s_add_u32 s33, s50, s2
	s_addc_u32 s104, s51, s3
	s_lshl_b64 s[2:3], s[44:45], 2
	s_add_u32 s2, s33, s2
	s_addc_u32 s3, s104, s3
	v_writelane_b32 v58, s2, 2
	global_load_dword v4, v3, s[2:3] offset:-4
	v_writelane_b32 v58, s3, 3
	s_waitcnt vmcnt(0)
	v_cmp_gt_i32_e32 vcc_lo, 1, v4
	s_cbranch_vccnz .LBB4_254
; %bb.9:
	v_div_scale_f64 v[1:2], null, s[22:23], s[22:23], 1.0
	s_load_dword s24, s[4:5], 0x0
	s_mul_i32 s3, s38, s7
	s_mul_hi_u32 s13, s38, s6
	s_mul_i32 s25, s39, s6
	s_mul_i32 s12, s38, s6
	;; [unrolled: 1-line block ×3, first 2 shown]
	s_mul_hi_u32 s39, s42, s6
	s_mul_i32 s34, s42, s6
	s_mul_i32 s50, s48, s7
	s_mul_hi_u32 s51, s48, s6
	s_mul_i32 s38, s48, s6
	s_mul_i32 s48, s28, s7
	;; [unrolled: 3-line block ×3, first 2 shown]
	s_load_dwordx2 s[28:29], s[4:5], 0x68
	s_add_i32 s4, s13, s3
	v_div_scale_f64 v[11:12], vcc_lo, 1.0, s[22:23], 1.0
	s_add_i32 s13, s4, s25
	v_rcp_f64_e32 v[5:6], v[1:2]
	s_lshl_b64 s[4:5], s[12:13], 3
	s_waitcnt lgkmcnt(0)
	s_ashr_i32 s25, s24, 31
	s_add_u32 s45, s36, s4
	s_mul_i32 s43, s43, s6
	s_addc_u32 vcc_hi, s37, s5
	s_add_i32 s4, s39, s35
	s_mul_i32 s49, s49, s6
	s_add_i32 s35, s4, s43
	s_mul_i32 s56, s8, s7
	s_lshl_b64 s[4:5], s[34:35], 3
	s_mul_i32 s36, s24, 5
	s_add_u32 s82, s40, s4
	s_addc_u32 s58, s41, s5
	s_add_i32 s4, s51, s50
	s_mul_hi_u32 s57, s8, s6
	s_add_i32 s39, s4, s49
	s_mul_i32 s9, s9, s6
	s_lshl_b64 s[12:13], s[38:39], 3
	s_mul_i32 s8, s8, s6
	s_add_u32 s60, s46, s12
	s_addc_u32 s61, s47, s13
	s_add_i32 s7, s54, s48
	s_mul_hi_i32 s5, s24, s6
	v_fma_f64 v[7:8], -v[1:2], v[5:6], 1.0
	s_add_i32 s43, s7, s55
	s_mul_i32 s4, s24, s6
	s_lshl_b64 s[34:35], s[42:43], 2
	s_mul_hi_i32 s7, s36, s6
	s_mul_i32 s6, s36, s6
	s_add_u32 s73, s26, s34
	s_addc_u32 s13, s27, s35
	s_lshl_b64 s[34:35], s[6:7], 3
	s_mov_b32 s12, s28
	s_add_u32 s36, s16, s34
	s_addc_u32 s37, s17, s35
	s_lshl_b64 s[4:5], s[4:5], 2
	v_writelane_b32 v58, s13, 4
	s_add_u32 s18, s18, s4
	s_addc_u32 s19, s19, s5
	s_add_i32 s5, s57, s56
	s_ashr_i32 s13, s28, 31
	s_add_i32 s9, s5, s9
	s_mul_i32 s50, s24, 3
	s_lshl_b64 s[8:9], s[8:9], 4
	v_lshlrev_b32_e32 v17, 3, v0
	v_fma_f64 v[5:6], v[5:6], v[7:8], v[5:6]
	v_max_f64 v[7:8], s[20:21], s[20:21]
	s_add_u32 s5, s30, s8
	s_addc_u32 s26, s31, s9
	s_lshl_b64 s[8:9], s[12:13], 4
	v_add_nc_u32_e32 v46, 8, v17
	s_add_u32 s28, s5, s8
	s_addc_u32 s26, s26, s9
	s_ashr_i32 s51, s50, 31
	v_cmp_gt_u32_e64 s1, 0x80, v0
	s_lshl_b64 s[8:9], s[50:51], 3
	v_cmp_gt_u32_e64 s2, 64, v0
	s_add_u32 s30, s36, s8
	s_addc_u32 s31, s37, s9
	s_lshl_b64 s[46:47], s[24:25], 4
	v_cmp_gt_u32_e64 s3, 32, v0
	s_sub_u32 s27, 0, s46
	s_subb_u32 s62, 0, s47
	s_add_u32 s38, s30, s27
	s_addc_u32 s39, s31, s62
	s_lshl_b64 s[48:49], s[24:25], 3
	v_sub_nc_u32_e32 v47, v46, v45
	v_fma_f64 v[9:10], -v[1:2], v[5:6], 1.0
	s_add_u32 s40, s38, s48
	s_addc_u32 s41, s39, s49
	s_add_u32 s42, s40, s46
	s_addc_u32 s43, s41, s47
	s_and_b32 s63, s0, s10
	v_cmp_gt_i32_e64 s4, s24, v0
	v_mov_b32_e32 v48, 1
	v_mov_b32_e32 v49, 0x3ff00000
	;; [unrolled: 1-line block ×3, first 2 shown]
	s_mov_b32 s64, 0xff800000
	s_mov_b32 s65, 0x41dfffff
	;; [unrolled: 1-line block ×3, first 2 shown]
                                        ; implicit-def: $vgpr27_vgpr28
                                        ; implicit-def: $vgpr19_vgpr20
                                        ; implicit-def: $sgpr69
	v_fma_f64 v[13:14], v[5:6], v[9:10], v[5:6]
	v_add_nc_u32_e32 v9, s24, v0
	v_max_f64 v[5:6], v[7:8], 0
	v_add_co_u32 v7, s5, s36, v17
	v_add_co_ci_u32_e64 v8, null, s37, 0, s5
	v_ashrrev_i32_e32 v10, 31, v9
	v_lshlrev_b64 v[9:10], 3, v[9:10]
	v_add_co_u32 v9, s5, s36, v9
	v_add_co_ci_u32_e64 v10, null, s37, v10, s5
	v_mul_f64 v[15:16], v[11:12], v[13:14]
	v_add_co_u32 v9, s5, v9, 8
	v_add_co_ci_u32_e64 v10, null, 0, v10, s5
	s_add_u32 s5, s82, 8
	v_writelane_b32 v58, s5, 5
	s_addc_u32 s5, s58, 0
	v_writelane_b32 v58, s5, 6
	s_add_u32 s5, s45, 8
	v_writelane_b32 v58, s5, 7
	s_addc_u32 s5, vcc_hi, 0
	v_writelane_b32 v58, s5, 8
	v_fma_f64 v[1:2], -v[1:2], v[15:16], v[11:12]
	s_add_u32 s5, s34, s8
	s_addc_u32 s10, s35, s9
	s_add_u32 s13, s16, s5
	s_addc_u32 s34, s17, s10
	v_add_co_u32 v11, s8, s13, v17
	v_add_co_ci_u32_e64 v12, null, s34, 0, s8
	s_mov_b32 s8, s50
	s_lshl_b32 s12, s24, 1
	v_writelane_b32 v58, s8, 9
	s_sub_u32 s46, s5, s46
	s_subb_u32 s47, s10, s47
	s_add_u32 s6, s6, s50
	s_addc_u32 s7, s7, s51
	v_writelane_b32 v58, s9, 10
	s_add_u32 s8, s6, s24
	s_addc_u32 s9, s7, s25
	s_lshl_b64 s[6:7], s[6:7], 3
	s_lshl_b64 s[8:9], s[8:9], 3
	s_sub_u32 s50, s6, s48
	v_div_fmas_f64 v[1:2], v[1:2], v[13:14], v[15:16]
	v_writelane_b32 v58, s8, 11
	s_subb_u32 s51, s7, s49
	s_add_u32 s54, s5, 8
	s_addc_u32 s55, s10, 0
	s_add_u32 s56, s13, 16
	v_writelane_b32 v58, s9, 12
	s_mov_b32 s13, s58
	s_addc_u32 s57, s34, 0
	s_add_u32 s58, s36, 8
	s_addc_u32 s59, s37, 0
	v_writelane_b32 v58, s82, 13
	s_mov_b32 s25, 0
                                        ; implicit-def: $vgpr17_vgpr18
                                        ; implicit-def: $vgpr15_vgpr16
	v_writelane_b32 v58, s13, 14
	v_writelane_b32 v58, s73, 15
	v_div_fixup_f64 v[13:14], v[1:2], s[22:23], 1.0
	s_branch .LBB4_12
.LBB4_10:                               ;   in Loop: Header=BB4_12 Depth=1
	v_readlane_b32 s6, v58, 2
	v_readlane_b32 s7, v58, 3
	;; [unrolled: 1-line block ×5, first 2 shown]
	s_mov_b32 s25, s10
	global_load_dword v4, v3, s[6:7] offset:-4
.LBB4_11:                               ;   in Loop: Header=BB4_12 Depth=1
	s_add_i32 s66, s66, 1
	s_waitcnt vmcnt(0)
	v_cmp_ge_i32_e32 vcc_lo, s66, v4
	s_cbranch_vccnz .LBB4_254
.LBB4_12:                               ; =>This Loop Header: Depth=1
                                        ;     Child Loop BB4_17 Depth 2
                                        ;     Child Loop BB4_22 Depth 2
                                        ;       Child Loop BB4_32 Depth 3
                                        ;       Child Loop BB4_35 Depth 3
	;; [unrolled: 1-line block ×4, first 2 shown]
                                        ;         Child Loop BB4_69 Depth 4
                                        ;         Child Loop BB4_108 Depth 4
	;; [unrolled: 1-line block ×5, first 2 shown]
                                        ;           Child Loop BB4_127 Depth 5
                                        ;         Child Loop BB4_141 Depth 4
                                        ;           Child Loop BB4_142 Depth 5
                                        ;           Child Loop BB4_144 Depth 5
                                        ;         Child Loop BB4_149 Depth 4
                                        ;       Child Loop BB4_192 Depth 3
                                        ;       Child Loop BB4_231 Depth 3
	;; [unrolled: 1-line block ×4, first 2 shown]
	v_readlane_b32 s5, v58, 4
	s_mov_b32 s68, 0
	s_cmp_eq_u32 s66, 0
	s_mov_b64 s[6:7], 0
	s_cbranch_scc1 .LBB4_14
; %bb.13:                               ;   in Loop: Header=BB4_12 Depth=1
	s_mov_b32 s67, s11
	s_lshl_b64 s[6:7], s[66:67], 2
	s_add_u32 s6, s73, s6
	s_addc_u32 s7, s5, s7
	global_load_dword v1, v3, s[6:7] offset:-4
	s_mov_b64 s[6:7], s[66:67]
	s_waitcnt vmcnt(0)
	v_readfirstlane_b32 s68, v1
.LBB4_14:                               ;   in Loop: Header=BB4_12 Depth=1
	s_lshl_b64 s[6:7], s[6:7], 2
	s_add_u32 s6, s73, s6
	s_addc_u32 s7, s5, s7
	s_not_b32 s5, s68
	global_load_dword v1, v3, s[6:7]
	s_waitcnt vmcnt(0)
	v_readfirstlane_b32 s70, v1
	v_subrev_nc_u32_e32 v51, s68, v1
	s_add_i32 s72, s5, s70
	s_cmp_lt_i32 s72, 1
	s_cselect_b32 s67, -1, 0
	s_and_b32 vcc_lo, exec_lo, s67
	s_cbranch_vccnz .LBB4_19
; %bb.15:                               ;   in Loop: Header=BB4_12 Depth=1
	s_ashr_i32 s69, s68, 31
	s_lshl_b64 s[8:9], s[68:69], 3
	s_add_u32 s6, s45, s8
	s_addc_u32 s7, vcc_hi, s9
	s_add_u32 s34, s82, s8
	s_addc_u32 s35, s13, s9
	s_ashr_i32 s71, s70, 31
	s_lshl_b64 s[48:49], s[70:71], 3
	s_add_u32 s74, s45, s48
	s_addc_u32 s75, vcc_hi, s49
	s_add_i32 s5, s70, -2
	s_add_u32 s48, s82, s48
	s_addc_u32 s49, s13, s49
	s_clause 0x3
	global_load_dwordx2 v[15:16], v3, s[6:7]
	global_load_dwordx2 v[1:2], v3, s[34:35]
	global_load_dwordx2 v[17:18], v3, s[74:75] offset:-8
	global_load_dwordx2 v[19:20], v3, s[48:49] offset:-16
	s_cmp_ge_i32 s68, s5
	s_waitcnt vmcnt(2)
	v_add_f64 v[15:16], |v[15:16]|, |v[1:2]|
	s_waitcnt vmcnt(0)
	v_add_f64 v[17:18], |v[17:18]|, |v[19:20]|
	v_cmp_lt_f64_e32 vcc_lo, v[15:16], v[17:18]
	v_cndmask_b32_e32 v16, v16, v18, vcc_lo
	v_cndmask_b32_e32 v15, v15, v17, vcc_lo
	s_cbranch_scc1 .LBB4_18
; %bb.16:                               ;   in Loop: Header=BB4_12 Depth=1
	v_readlane_b32 s6, v58, 5
	v_readlane_b32 s7, v58, 6
	;; [unrolled: 1-line block ×3, first 2 shown]
	s_add_u32 s6, s6, s8
	s_addc_u32 s7, s7, s9
	s_add_u32 s8, s10, s8
	v_readlane_b32 s10, v58, 8
	s_addc_u32 s9, s10, s9
	s_mov_b32 s10, s68
	.p2align	6
.LBB4_17:                               ;   Parent Loop BB4_12 Depth=1
                                        ; =>  This Inner Loop Header: Depth=2
	global_load_dwordx2 v[17:18], v3, s[8:9]
	s_add_i32 s10, s10, 1
	s_waitcnt vmcnt(0)
	v_add_f64 v[17:18], |v[1:2]|, |v[17:18]|
	global_load_dwordx2 v[1:2], v3, s[6:7]
	s_add_u32 s6, s6, 8
	s_addc_u32 s7, s7, 0
	s_add_u32 s8, s8, 8
	s_addc_u32 s9, s9, 0
	s_cmp_lt_i32 s10, s5
	s_waitcnt vmcnt(0)
	v_add_f64 v[17:18], v[17:18], |v[1:2]|
	v_cmp_lt_f64_e32 vcc_lo, v[15:16], v[17:18]
	v_cndmask_b32_e32 v16, v16, v18, vcc_lo
	v_cndmask_b32_e32 v15, v15, v17, vcc_lo
	s_cbranch_scc1 .LBB4_17
.LBB4_18:                               ;   in Loop: Header=BB4_12 Depth=1
	v_cvt_f64_u32_e32 v[1:2], v51
	s_mov_b32 s6, 0x9999999a
	s_mov_b32 s7, 0x3fb99999
	;; [unrolled: 1-line block ×3, first 2 shown]
	v_div_scale_f64 v[17:18], null, v[1:2], v[1:2], s[6:7]
	v_div_scale_f64 v[23:24], vcc_lo, s[6:7], v[1:2], s[6:7]
	v_rcp_f64_e32 v[19:20], v[17:18]
	v_fma_f64 v[21:22], -v[17:18], v[19:20], 1.0
	v_fma_f64 v[19:20], v[19:20], v[21:22], v[19:20]
	v_fma_f64 v[21:22], -v[17:18], v[19:20], 1.0
	v_fma_f64 v[19:20], v[19:20], v[21:22], v[19:20]
	v_mul_f64 v[21:22], v[23:24], v[19:20]
	v_fma_f64 v[17:18], -v[17:18], v[21:22], v[23:24]
	v_div_fmas_f64 v[17:18], v[17:18], v[19:20], v[21:22]
	v_div_fixup_f64 v[1:2], v[17:18], v[1:2], s[6:7]
	s_mov_b32 s6, 0xd2f1a9fc
	s_mov_b32 s7, 0x3f50624d
	v_cmp_gt_f64_e32 vcc_lo, 0x10000000, v[1:2]
	s_and_b32 s5, vcc_lo, exec_lo
	s_cselect_b32 s5, 0x100, 0
	v_ldexp_f64 v[1:2], v[1:2], s5
	s_cselect_b32 s5, 0xffffff80, 0
	v_rsq_f64_e32 v[17:18], v[1:2]
	v_cmp_class_f64_e64 vcc_lo, v[1:2], 0x260
	v_mul_f64 v[19:20], v[1:2], v[17:18]
	v_mul_f64 v[17:18], v[17:18], 0.5
	v_fma_f64 v[21:22], -v[17:18], v[19:20], 0.5
	v_fma_f64 v[19:20], v[19:20], v[21:22], v[19:20]
	v_fma_f64 v[17:18], v[17:18], v[21:22], v[17:18]
	v_fma_f64 v[21:22], -v[19:20], v[19:20], v[1:2]
	v_fma_f64 v[19:20], v[21:22], v[17:18], v[19:20]
	v_fma_f64 v[21:22], -v[19:20], v[19:20], v[1:2]
	v_fma_f64 v[17:18], v[21:22], v[17:18], v[19:20]
	v_mul_f64 v[19:20], v[15:16], s[6:7]
	v_ldexp_f64 v[17:18], v[17:18], s5
	v_cndmask_b32_e32 v18, v18, v2, vcc_lo
	v_cndmask_b32_e32 v17, v17, v1, vcc_lo
.LBB4_19:                               ;   in Loop: Header=BB4_12 Depth=1
	s_cmp_ge_i32 s25, s44
	s_cbranch_scc1 .LBB4_11
; %bb.20:                               ;   in Loop: Header=BB4_12 Depth=1
	v_cvt_f64_u32_e32 v[1:2], v51
	s_ashr_i32 s71, s70, 31
	v_add_nc_u32_e32 v23, s68, v0
	s_lshl_b64 s[6:7], s[70:71], 3
	s_mov_b32 s73, s11
	s_add_u32 s74, s45, s6
	s_addc_u32 s75, vcc_hi, s7
	v_readlane_b32 s6, v58, 9
	v_ashrrev_i32_e32 v24, 31, v23
	v_readlane_b32 s7, v58, 10
	v_cmp_ge_i32_e64 s5, s72, v0
	s_mov_b32 s34, 0
	s_add_i32 s6, s72, s6
	s_mul_i32 s35, s29, s25
	s_ashr_i32 s7, s6, 31
	s_lshl_b64 s[6:7], s[6:7], 3
	s_add_u32 s76, s36, s6
	s_addc_u32 s77, s37, s7
	s_lshl_b64 s[8:9], s[72:73], 2
	v_cmp_gt_i32_e64 s6, s72, v0
	v_mul_f64 v[21:22], v[15:16], v[1:2]
	v_lshlrev_b64 v[1:2], 3, v[23:24]
	s_add_u32 s78, s18, s8
	s_addc_u32 s79, s19, s9
	s_lshl_b64 s[8:9], s[72:73], 3
	s_add_i32 s71, s72, -1
	s_add_u32 s80, s30, s8
	v_add_co_u32 v23, vcc_lo, s45, v1
	v_add_co_ci_u32_e64 v24, null, vcc_hi, v2, vcc_lo
	v_add_co_u32 v25, vcc_lo, s82, v1
	v_cmp_lt_u32_e64 s7, v0, v51
	v_cmp_lt_u32_e64 s8, 2, v51
	v_add_co_ci_u32_e64 v26, null, s13, v2, vcc_lo
	s_addc_u32 s81, s31, s9
	s_sub_i32 s73, s70, s68
	s_sub_i32 s13, 0, s68
	s_mov_b32 s82, s25
	s_branch .LBB4_22
.LBB4_21:                               ;   in Loop: Header=BB4_22 Depth=2
	s_mov_b32 s10, s82
                                        ; implicit-def: $sgpr34
                                        ; implicit-def: $sgpr35
	s_and_b32 vcc_lo, exec_lo, s9
	s_cbranch_vccnz .LBB4_10
.LBB4_22:                               ;   Parent Loop BB4_12 Depth=1
                                        ; =>  This Loop Header: Depth=2
                                        ;       Child Loop BB4_32 Depth 3
                                        ;       Child Loop BB4_35 Depth 3
	;; [unrolled: 1-line block ×4, first 2 shown]
                                        ;         Child Loop BB4_69 Depth 4
                                        ;         Child Loop BB4_108 Depth 4
	;; [unrolled: 1-line block ×5, first 2 shown]
                                        ;           Child Loop BB4_127 Depth 5
                                        ;         Child Loop BB4_141 Depth 4
                                        ;           Child Loop BB4_142 Depth 5
                                        ;           Child Loop BB4_144 Depth 5
                                        ;         Child Loop BB4_149 Depth 4
                                        ;       Child Loop BB4_192 Depth 3
                                        ;       Child Loop BB4_231 Depth 3
	;; [unrolled: 1-line block ×4, first 2 shown]
	s_ashr_i32 s83, s82, 31
	s_mov_b32 s9, -1
	s_lshl_b64 s[48:49], s[82:83], 2
	s_add_u32 s48, s33, s48
	s_addc_u32 s49, s104, s49
	global_load_dword v1, v3, s[48:49]
	s_waitcnt vmcnt(0)
	v_add_nc_u32_e32 v1, -1, v1
	v_cmp_ne_u32_e32 vcc_lo, s66, v1
	s_cbranch_vccnz .LBB4_21
; %bb.23:                               ;   in Loop: Header=BB4_22 Depth=2
	s_lshl_b64 s[48:49], s[82:83], 3
	s_add_u32 s48, s60, s48
	s_addc_u32 s49, s61, s49
	s_and_b32 vcc_lo, exec_lo, s67
	global_load_dwordx2 v[1:2], v3, s[48:49]
	s_cbranch_vccz .LBB4_27
; %bb.24:                               ;   in Loop: Header=BB4_22 Depth=2
	s_and_saveexec_b32 s9, s0
	s_cbranch_execz .LBB4_26
; %bb.25:                               ;   in Loop: Header=BB4_22 Depth=2
	v_mov_b32_e32 v4, v49
	global_store_dwordx2 v3, v[3:4], s[36:37]
.LBB4_26:                               ;   in Loop: Header=BB4_22 Depth=2
	s_or_b32 exec_lo, exec_lo, s9
	s_waitcnt vmcnt(0)
	s_waitcnt_vscnt null, 0x0
	s_mov_b32 s9, 0
	s_barrier
.LBB4_27:                               ;   in Loop: Header=BB4_22 Depth=2
	s_and_b32 vcc_lo, exec_lo, s9
	s_cbranch_vccz .LBB4_62
; %bb.28:                               ;   in Loop: Header=BB4_22 Depth=2
	s_cmp_lg_u32 s34, 0
	s_cselect_b32 s83, -1, 0
	s_cmp_eq_u32 s34, 0
	s_cbranch_scc1 .LBB4_30
; %bb.29:                               ;   in Loop: Header=BB4_22 Depth=2
	s_waitcnt vmcnt(0)
	v_mul_f64 v[29:30], s[20:21], v[1:2]
	v_add_f64 v[33:34], v[1:2], -v[27:28]
	v_mul_f64 v[31:32], 0x40240000, |v[29:30]|
	v_fma_f64 v[29:30], 0x40240000, |v[29:30]|, v[27:28]
	v_cmp_lt_f64_e32 vcc_lo, v[33:34], v[31:32]
	v_cndmask_b32_e32 v2, v2, v30, vcc_lo
	v_cndmask_b32_e32 v1, v1, v29, vcc_lo
.LBB4_30:                               ;   in Loop: Header=BB4_22 Depth=2
	s_and_saveexec_b32 s10, s5
	s_cbranch_execz .LBB4_33
; %bb.31:                               ;   in Loop: Header=BB4_22 Depth=2
	s_mul_i32 s9, s66, s44
	s_mov_b32 s48, 0
	s_add_i32 s9, s82, s9
	v_lshl_or_b32 v4, s9, 8, v0
	v_add_nc_u32_e32 v29, 1, v4
	v_sub_nc_u32_e32 v32, 0x7ffffffe, v4
	v_mul_hi_i32 v30, 0x40000001, v29
	v_cmp_gt_u32_e32 vcc_lo, 0x7fffff07, v32
	v_lshrrev_b32_e32 v31, 31, v30
	v_ashrrev_i32_e32 v30, 29, v30
	v_add_nc_u32_e32 v30, v30, v31
	v_sub_nc_u32_e32 v31, 0xf7, v4
	v_mul_lo_u32 v30, 0x7fffffff, v30
	v_max_u32_e32 v31, 1, v31
	v_cndmask_b32_e32 v31, v31, v32, vcc_lo
	v_cmp_ne_u32_e32 vcc_lo, 0x7ffffffe, v4
	v_sub_nc_u32_e32 v32, v29, v30
	v_mov_b32_e32 v30, v8
	v_mov_b32_e32 v29, v7
	;; [unrolled: 1-line block ×3, first 2 shown]
	v_cndmask_b32_e32 v31, 1, v31, vcc_lo
	v_max_i32_e32 v32, 1, v32
.LBB4_32:                               ;   Parent Loop BB4_12 Depth=1
                                        ;     Parent Loop BB4_22 Depth=2
                                        ; =>    This Inner Loop Header: Depth=3
	v_mul_hi_i32 v33, 0x5e4789c9, v32
	v_mul_hi_i32 v34, 0x4f7a09cd, v31
	v_add_nc_u32_e32 v4, 0x100, v4
	v_lshrrev_b32_e32 v35, 31, v33
	v_ashrrev_i32_e32 v33, 14, v33
	v_lshrrev_b32_e32 v36, 31, v34
	v_ashrrev_i32_e32 v34, 14, v34
	v_add_nc_u32_e32 v33, v33, v35
	v_add_nc_u32_e32 v34, v34, v36
	v_mul_i32_i24_e32 v35, 0xadc8, v33
	v_mul_i32_i24_e32 v36, 0xce26, v34
	v_sub_nc_u32_e32 v32, v32, v35
	v_sub_nc_u32_e32 v31, v31, v36
	v_mul_lo_u32 v32, 0xbc8f, v32
	v_mul_lo_u32 v31, 0x9ef4, v31
	v_mad_i32_i24 v32, 0xfffff2b9, v33, v32
	v_mad_i32_i24 v31, 0xfffff131, v34, v31
	v_ashrrev_i32_e32 v33, 31, v32
	v_ashrrev_i32_e32 v34, 31, v31
	v_and_b32_e32 v33, 0x7fffffff, v33
	v_and_b32_e32 v34, 0x7fffff07, v34
	v_add_nc_u32_e32 v32, v33, v32
	v_add_nc_u32_e32 v31, v34, v31
	v_sub_nc_u32_e32 v33, v32, v31
	v_ashrrev_i32_e32 v34, 31, v33
	v_and_b32_e32 v34, 0x7fffffff, v34
	v_add_nc_u32_e32 v33, v34, v33
	v_cvt_f64_i32_e32 v[33:34], v33
	v_div_scale_f64 v[35:36], null, s[64:65], s[64:65], v[33:34]
	v_div_scale_f64 v[41:42], vcc_lo, v[33:34], s[64:65], v[33:34]
	v_rcp_f64_e32 v[37:38], v[35:36]
	v_fma_f64 v[39:40], -v[35:36], v[37:38], 1.0
	v_fma_f64 v[37:38], v[37:38], v[39:40], v[37:38]
	v_fma_f64 v[39:40], -v[35:36], v[37:38], 1.0
	v_fma_f64 v[37:38], v[37:38], v[39:40], v[37:38]
	v_mul_f64 v[39:40], v[41:42], v[37:38]
	v_fma_f64 v[35:36], -v[35:36], v[39:40], v[41:42]
	v_div_fmas_f64 v[35:36], v[35:36], v[37:38], v[39:40]
	v_cmp_lt_i32_e32 vcc_lo, s72, v4
	s_or_b32 s48, vcc_lo, s48
	v_div_fixup_f64 v[33:34], v[35:36], s[64:65], v[33:34]
	global_store_dwordx2 v[29:30], v[33:34], off
	v_add_co_u32 v29, s9, 0x800, v29
	v_add_co_ci_u32_e64 v30, null, 0, v30, s9
	s_andn2_b32 exec_lo, exec_lo, s48
	s_cbranch_execnz .LBB4_32
.LBB4_33:                               ;   in Loop: Header=BB4_22 Depth=2
	s_or_b32 exec_lo, exec_lo, s10
	s_and_saveexec_b32 s10, s6
	s_cbranch_execz .LBB4_36
; %bb.34:                               ;   in Loop: Header=BB4_22 Depth=2
	v_mov_b32_e32 v30, v26
	v_mov_b32_e32 v32, v24
	;; [unrolled: 1-line block ×9, first 2 shown]
	s_mov_b32 s48, 0
	s_inst_prefetch 0x1
	.p2align	6
.LBB4_35:                               ;   Parent Loop BB4_12 Depth=1
                                        ;     Parent Loop BB4_22 Depth=2
                                        ; =>    This Inner Loop Header: Depth=3
	global_load_dwordx2 v[37:38], v[31:32], off
	v_add_nc_u32_e32 v39, s12, v4
	v_add_nc_u32_e32 v4, 0x100, v4
	v_add_co_u32 v31, vcc_lo, 0x800, v31
	v_add_co_ci_u32_e64 v32, null, 0, v32, vcc_lo
	v_ashrrev_i32_e32 v40, 31, v39
	v_cmp_le_i32_e32 vcc_lo, s72, v4
	v_lshlrev_b64 v[39:40], 3, v[39:40]
	s_or_b32 s48, vcc_lo, s48
	v_add_co_u32 v39, s9, s36, v39
	v_add_co_ci_u32_e64 v40, null, s37, v40, s9
	s_waitcnt vmcnt(0)
	global_store_dwordx2 v[35:36], v[37:38], off
	global_load_dwordx2 v[37:38], v[29:30], off
	v_add_co_u32 v35, s9, 0x800, v35
	v_add_co_ci_u32_e64 v36, null, 0, v36, s9
	v_add_co_u32 v29, s9, 0x800, v29
	v_add_co_ci_u32_e64 v30, null, 0, v30, s9
	s_waitcnt vmcnt(0)
	global_store_dwordx2 v[39:40], v[37:38], off
	global_store_dwordx2 v[33:34], v[37:38], off
	v_add_co_u32 v33, s9, 0x800, v33
	v_add_co_ci_u32_e64 v34, null, 0, v34, s9
	s_andn2_b32 exec_lo, exec_lo, s48
	s_cbranch_execnz .LBB4_35
.LBB4_36:                               ;   in Loop: Header=BB4_22 Depth=2
	s_inst_prefetch 0x2
	s_or_b32 exec_lo, exec_lo, s10
	s_and_saveexec_b32 s9, s0
	s_cbranch_execz .LBB4_38
; %bb.37:                               ;   in Loop: Header=BB4_22 Depth=2
	global_load_dwordx2 v[29:30], v3, s[74:75] offset:-8
	s_waitcnt vmcnt(0)
	global_store_dwordx2 v3, v[29:30], s[76:77]
.LBB4_38:                               ;   in Loop: Header=BB4_22 Depth=2
	s_or_b32 exec_lo, exec_lo, s9
	s_waitcnt vmcnt(0)
	s_waitcnt_vscnt null, 0x0
	s_barrier
	buffer_gl0_inv
	s_and_saveexec_b32 s9, s0
	s_cbranch_execz .LBB4_66
; %bb.39:                               ;   in Loop: Header=BB4_22 Depth=2
	global_load_dwordx2 v[29:30], v3, s[30:31]
	v_readlane_b32 s90, v58, 11
	v_readlane_b32 s91, v58, 12
	s_mov_b32 s10, 1
	s_mov_b64 s[84:85], s[54:55]
	s_mov_b64 s[86:87], s[50:51]
	;; [unrolled: 1-line block ×4, first 2 shown]
	global_store_dword v3, v3, s[78:79]
	s_waitcnt vmcnt(0)
	v_add_f64 v[29:30], v[29:30], -v[1:2]
	global_store_dwordx2 v3, v[29:30], s[30:31]
	global_load_dwordx2 v[31:32], v3, s[38:39] offset:8
	s_waitcnt vmcnt(0)
	v_add_f64 v[29:30], |v[29:30]|, |v[31:32]|
	s_branch .LBB4_41
.LBB4_40:                               ;   in Loop: Header=BB4_41 Depth=3
	s_add_u32 s92, s92, 8
	s_addc_u32 s93, s93, 0
	s_add_u32 s90, s90, 8
	s_addc_u32 s91, s91, 0
	;; [unrolled: 2-line block ×4, first 2 shown]
	s_add_i32 s10, s10, 1
	s_add_u32 s84, s84, 8
	s_addc_u32 s85, s85, 0
	s_cmp_eq_u32 s73, s10
	s_cbranch_scc1 .LBB4_63
.LBB4_41:                               ;   Parent Loop BB4_12 Depth=1
                                        ;     Parent Loop BB4_22 Depth=2
                                        ; =>    This Inner Loop Header: Depth=3
	s_add_i32 s49, s10, -1
	s_add_u32 s96, s16, s84
	s_addc_u32 s97, s17, s85
	s_add_u32 s94, s16, s86
	global_load_dwordx2 v[31:32], v3, s[96:97]
	s_addc_u32 s95, s17, s87
	s_cmp_lt_u32 s49, s71
	s_cselect_b32 s48, -1, 0
	s_cmp_ge_u32 s49, s71
	s_waitcnt vmcnt(0)
	v_add_f64 v[35:36], v[31:32], -v[1:2]
	global_store_dwordx2 v3, v[35:36], s[96:97]
	global_load_dwordx2 v[39:40], v3, s[94:95]
	s_waitcnt vmcnt(0)
	v_add_f64 v[31:32], |v[35:36]|, |v[39:40]|
	s_cbranch_scc1 .LBB4_43
; %bb.42:                               ;   in Loop: Header=BB4_41 Depth=3
	s_add_u32 s98, s16, s92
	s_addc_u32 s99, s17, s93
	global_load_dwordx2 v[33:34], v3, s[98:99] offset:16
	s_waitcnt vmcnt(0)
	v_add_f64 v[31:32], v[31:32], |v[33:34]|
.LBB4_43:                               ;   in Loop: Header=BB4_41 Depth=3
	global_load_dwordx2 v[41:42], v3, s[96:97] offset:-8
	s_waitcnt vmcnt(0)
	v_cmp_eq_f64_e32 vcc_lo, 0, v[41:42]
	s_cbranch_vccnz .LBB4_54
; %bb.44:                               ;   in Loop: Header=BB4_41 Depth=3
	v_and_b32_e32 v34, 0x7fffffff, v42
	v_mov_b32_e32 v33, v41
	v_div_scale_f64 v[37:38], null, v[29:30], v[29:30], v[33:34]
	v_div_scale_f64 v[33:34], vcc_lo, v[33:34], v[29:30], v[33:34]
	v_rcp_f64_e32 v[43:44], v[37:38]
	v_fma_f64 v[52:53], -v[37:38], v[43:44], 1.0
	v_fma_f64 v[43:44], v[43:44], v[52:53], v[43:44]
	v_fma_f64 v[52:53], -v[37:38], v[43:44], 1.0
	v_fma_f64 v[43:44], v[43:44], v[52:53], v[43:44]
	v_mul_f64 v[52:53], v[33:34], v[43:44]
	v_fma_f64 v[33:34], -v[37:38], v[52:53], v[33:34]
	v_div_fmas_f64 v[33:34], v[33:34], v[43:44], v[52:53]
	v_div_fixup_f64 v[33:34], v[33:34], v[29:30], |v[41:42]|
	v_cmp_neq_f64_e32 vcc_lo, 0, v[39:40]
	s_cbranch_vccz .LBB4_55
.LBB4_45:                               ;   in Loop: Header=BB4_41 Depth=3
	v_and_b32_e32 v38, 0x7fffffff, v40
	v_mov_b32_e32 v37, v39
	s_mov_b32 s49, -1
	v_div_scale_f64 v[43:44], null, v[31:32], v[31:32], v[37:38]
	v_div_scale_f64 v[37:38], vcc_lo, v[37:38], v[31:32], v[37:38]
	v_rcp_f64_e32 v[52:53], v[43:44]
	v_fma_f64 v[54:55], -v[43:44], v[52:53], 1.0
	v_fma_f64 v[52:53], v[52:53], v[54:55], v[52:53]
	v_fma_f64 v[54:55], -v[43:44], v[52:53], 1.0
	v_fma_f64 v[52:53], v[52:53], v[54:55], v[52:53]
	v_mul_f64 v[54:55], v[37:38], v[52:53]
	v_fma_f64 v[37:38], -v[43:44], v[54:55], v[37:38]
	v_div_fmas_f64 v[37:38], v[37:38], v[52:53], v[54:55]
	v_div_fixup_f64 v[37:38], v[37:38], v[31:32], |v[39:40]|
	v_cmp_nle_f64_e32 vcc_lo, v[37:38], v[33:34]
	s_cbranch_vccnz .LBB4_49
; %bb.46:                               ;   in Loop: Header=BB4_41 Depth=3
	v_div_scale_f64 v[43:44], null, v[41:42], v[41:42], v[39:40]
	s_add_u32 s98, s16, s92
	s_addc_u32 s99, s17, s93
	v_rcp_f64_e32 v[52:53], v[43:44]
	v_fma_f64 v[54:55], -v[43:44], v[52:53], 1.0
	v_fma_f64 v[52:53], v[52:53], v[54:55], v[52:53]
	v_fma_f64 v[54:55], -v[43:44], v[52:53], 1.0
	v_fma_f64 v[52:53], v[52:53], v[54:55], v[52:53]
	v_div_scale_f64 v[54:55], vcc_lo, v[39:40], v[41:42], v[39:40]
	v_mul_f64 v[56:57], v[54:55], v[52:53]
	v_fma_f64 v[43:44], -v[43:44], v[56:57], v[54:55]
	v_div_fmas_f64 v[43:44], v[43:44], v[52:53], v[56:57]
	s_andn2_b32 vcc_lo, exec_lo, s48
	v_div_fixup_f64 v[43:44], v[43:44], v[41:42], v[39:40]
	global_store_dwordx2 v3, v[43:44], s[94:95]
	s_clause 0x1
	global_load_dwordx2 v[52:53], v3, s[96:97]
	global_load_dwordx2 v[54:55], v3, s[98:99] offset:8
	s_waitcnt vmcnt(0)
	v_fma_f64 v[43:44], -v[43:44], v[54:55], v[52:53]
	global_store_dwordx2 v3, v[43:44], s[96:97]
	global_store_dword v3, v3, s[88:89]
	s_cbranch_vccnz .LBB4_48
; %bb.47:                               ;   in Loop: Header=BB4_41 Depth=3
	v_mov_b32_e32 v4, v3
	s_add_u32 s98, s16, s90
	s_addc_u32 s99, s17, s91
	global_store_dwordx2 v3, v[3:4], s[98:99]
.LBB4_48:                               ;   in Loop: Header=BB4_41 Depth=3
	s_mov_b32 s49, 0
.LBB4_49:                               ;   in Loop: Header=BB4_41 Depth=3
	v_mov_b32_e32 v44, v32
	v_mov_b32_e32 v43, v31
	s_andn2_b32 vcc_lo, exec_lo, s49
	s_cbranch_vccnz .LBB4_53
; %bb.50:                               ;   in Loop: Header=BB4_41 Depth=3
	v_div_scale_f64 v[43:44], null, v[39:40], v[39:40], v[41:42]
	s_add_u32 s98, s16, s92
	s_addc_u32 s99, s17, s93
	global_store_dwordx2 v3, v[39:40], s[96:97] offset:-8
	v_rcp_f64_e32 v[52:53], v[43:44]
	v_fma_f64 v[54:55], -v[43:44], v[52:53], 1.0
	v_fma_f64 v[52:53], v[52:53], v[54:55], v[52:53]
	v_fma_f64 v[54:55], -v[43:44], v[52:53], 1.0
	v_fma_f64 v[52:53], v[52:53], v[54:55], v[52:53]
	v_div_scale_f64 v[54:55], vcc_lo, v[41:42], v[39:40], v[41:42]
	v_mul_f64 v[56:57], v[54:55], v[52:53]
	v_fma_f64 v[43:44], -v[43:44], v[56:57], v[54:55]
	v_div_fmas_f64 v[43:44], v[43:44], v[52:53], v[56:57]
	s_andn2_b32 vcc_lo, exec_lo, s48
	v_div_fixup_f64 v[41:42], v[43:44], v[39:40], v[41:42]
	global_load_dwordx2 v[39:40], v3, s[98:99] offset:8
	s_waitcnt vmcnt(0)
	v_fma_f64 v[39:40], -v[35:36], v[41:42], v[39:40]
	global_store_dwordx2 v3, v[39:40], s[96:97]
	global_store_dword v3, v48, s[88:89]
	s_cbranch_vccnz .LBB4_52
; %bb.51:                               ;   in Loop: Header=BB4_41 Depth=3
	global_load_dwordx2 v[39:40], v3, s[98:99] offset:16
	s_add_u32 s96, s16, s90
	s_addc_u32 s97, s17, s91
	s_waitcnt vmcnt(0)
	v_mul_f64 v[43:44], v[39:40], -v[41:42]
	global_store_dwordx2 v3, v[39:40], s[96:97]
	global_store_dwordx2 v3, v[43:44], s[98:99] offset:16
.LBB4_52:                               ;   in Loop: Header=BB4_41 Depth=3
	v_mov_b32_e32 v44, v30
	v_mov_b32_e32 v43, v29
	global_store_dwordx2 v3, v[35:36], s[98:99] offset:8
	global_store_dwordx2 v3, v[41:42], s[94:95]
.LBB4_53:                               ;   in Loop: Header=BB4_41 Depth=3
	v_mov_b32_e32 v29, v43
	v_mov_b32_e32 v30, v44
	s_cbranch_execz .LBB4_56
	s_branch .LBB4_59
.LBB4_54:                               ;   in Loop: Header=BB4_41 Depth=3
	v_mov_b32_e32 v33, 0
	v_mov_b32_e32 v34, 0
	v_cmp_neq_f64_e32 vcc_lo, 0, v[39:40]
	s_cbranch_vccnz .LBB4_45
.LBB4_55:                               ;   in Loop: Header=BB4_41 Depth=3
                                        ; implicit-def: $vgpr37_vgpr38
                                        ; implicit-def: $vgpr29_vgpr30
.LBB4_56:                               ;   in Loop: Header=BB4_41 Depth=3
	s_andn2_b32 vcc_lo, exec_lo, s48
	global_store_dword v3, v3, s[88:89]
	s_cbranch_vccnz .LBB4_58
; %bb.57:                               ;   in Loop: Header=BB4_41 Depth=3
	v_mov_b32_e32 v4, v3
	s_add_u32 s48, s16, s90
	s_addc_u32 s49, s17, s91
	global_store_dwordx2 v3, v[3:4], s[48:49]
.LBB4_58:                               ;   in Loop: Header=BB4_41 Depth=3
	v_mov_b32_e32 v37, 0
	v_mov_b32_e32 v29, v31
	;; [unrolled: 1-line block ×4, first 2 shown]
.LBB4_59:                               ;   in Loop: Header=BB4_41 Depth=3
	v_max_f64 v[31:32], v[37:38], v[37:38]
	v_max_f64 v[33:34], v[33:34], v[33:34]
	;; [unrolled: 1-line block ×3, first 2 shown]
	v_cmp_nle_f64_e32 vcc_lo, v[31:32], v[5:6]
	s_cbranch_vccnz .LBB4_40
; %bb.60:                               ;   in Loop: Header=BB4_41 Depth=3
	global_load_dword v4, v3, s[78:79]
	s_waitcnt vmcnt(0)
	v_cmp_ne_u32_e32 vcc_lo, 0, v4
	s_cbranch_vccnz .LBB4_40
; %bb.61:                               ;   in Loop: Header=BB4_41 Depth=3
	v_mov_b32_e32 v4, s10
	global_store_dword v3, v4, s[78:79]
	s_branch .LBB4_40
.LBB4_62:                               ;   in Loop: Header=BB4_22 Depth=2
	s_waitcnt vmcnt(0)
	v_mov_b32_e32 v28, v2
	v_mov_b32_e32 v27, v1
	s_waitcnt_vscnt null, 0x0
	buffer_gl0_inv
	s_and_saveexec_b32 s10, s4
	s_cbranch_execnz .LBB4_249
	s_branch .LBB4_253
.LBB4_63:                               ;   in Loop: Header=BB4_22 Depth=2
	global_load_dwordx2 v[31:32], v3, s[80:81]
	v_mul_f64 v[29:30], v[5:6], v[29:30]
	s_waitcnt vmcnt(0)
	v_cmp_le_f64_e64 s10, |v[31:32]|, v[29:30]
	s_and_b32 vcc_lo, exec_lo, s10
	s_cbranch_vccz .LBB4_66
; %bb.64:                               ;   in Loop: Header=BB4_22 Depth=2
	global_load_dword v4, v3, s[78:79]
	s_waitcnt vmcnt(0)
	v_cmp_ne_u32_e32 vcc_lo, 0, v4
	s_cbranch_vccnz .LBB4_66
; %bb.65:                               ;   in Loop: Header=BB4_22 Depth=2
	global_store_dword v3, v51, s[78:79]
.LBB4_66:                               ;   in Loop: Header=BB4_22 Depth=2
	s_or_b32 exec_lo, exec_lo, s9
	v_add_f64 v[27:28], v[1:2], -v[27:28]
	s_mov_b32 s91, 0
	s_mov_b32 s92, 0
	v_cmp_gt_f64_e64 s90, |v[27:28]|, v[19:20]
.LBB4_67:                               ;   Parent Loop BB4_12 Depth=1
                                        ;     Parent Loop BB4_22 Depth=2
                                        ; =>    This Loop Header: Depth=3
                                        ;         Child Loop BB4_69 Depth 4
                                        ;         Child Loop BB4_108 Depth 4
	;; [unrolled: 1-line block ×5, first 2 shown]
                                        ;           Child Loop BB4_127 Depth 5
                                        ;         Child Loop BB4_141 Depth 4
                                        ;           Child Loop BB4_142 Depth 5
                                        ;           Child Loop BB4_144 Depth 5
                                        ;         Child Loop BB4_149 Depth 4
	v_mov_b32_e32 v27, 0
	v_mov_b32_e32 v28, 0
	v_bfrev_b32_e32 v4, -2
	s_and_saveexec_b32 s10, s7
	s_cbranch_execz .LBB4_71
; %bb.68:                               ;   in Loop: Header=BB4_67 Depth=3
	v_mov_b32_e32 v27, 0
	v_mov_b32_e32 v30, v8
	v_bfrev_b32_e32 v4, -2
	v_mov_b32_e32 v31, v0
	v_mov_b32_e32 v28, 0
	;; [unrolled: 1-line block ×3, first 2 shown]
	s_mov_b32 s48, 0
	.p2align	6
.LBB4_69:                               ;   Parent Loop BB4_12 Depth=1
                                        ;     Parent Loop BB4_22 Depth=2
                                        ;       Parent Loop BB4_67 Depth=3
                                        ; =>      This Inner Loop Header: Depth=4
	global_load_dwordx2 v[32:33], v[29:30], off
	v_cmp_eq_u32_e32 vcc_lo, 0x7fffffff, v4
	v_add_nc_u32_e32 v34, 1, v31
	v_add_nc_u32_e32 v31, 0x100, v31
	v_add_co_u32 v29, s9, 0x800, v29
	v_add_co_ci_u32_e64 v30, null, 0, v30, s9
	v_cmp_ge_u32_e64 s9, v31, v51
	s_waitcnt vmcnt(0)
	v_cmp_lt_f64_e64 s49, v[27:28], |v[32:33]|
	v_and_b32_e32 v33, 0x7fffffff, v33
	s_or_b32 vcc_lo, s49, vcc_lo
	s_or_b32 s48, s9, s48
	v_cndmask_b32_e32 v27, v27, v32, vcc_lo
	v_cndmask_b32_e32 v28, v28, v33, vcc_lo
	;; [unrolled: 1-line block ×3, first 2 shown]
	s_andn2_b32 exec_lo, exec_lo, s48
	s_cbranch_execnz .LBB4_69
; %bb.70:                               ;   in Loop: Header=BB4_67 Depth=3
	s_or_b32 exec_lo, exec_lo, s48
.LBB4_71:                               ;   in Loop: Header=BB4_67 Depth=3
	s_or_b32 exec_lo, exec_lo, s10
	ds_write_b64 v46, v[27:28]
	ds_write_b32 v47, v4 offset:4096
	s_waitcnt lgkmcnt(0)
	s_waitcnt_vscnt null, 0x0
	s_barrier
	buffer_gl0_inv
	s_and_saveexec_b32 s10, s1
	s_cbranch_execz .LBB4_77
; %bb.72:                               ;   in Loop: Header=BB4_67 Depth=3
	ds_read_b64 v[29:30], v46 offset:1024
	ds_read_b32 v31, v47 offset:4608
	s_mov_b32 s49, exec_lo
	s_waitcnt lgkmcnt(1)
	v_cmp_lt_f64_e64 s48, v[27:28], v[29:30]
	v_cmpx_nlt_f64_e32 v[27:28], v[29:30]
	s_cbranch_execz .LBB4_74
; %bb.73:                               ;   in Loop: Header=BB4_67 Depth=3
	v_cmp_eq_f64_e32 vcc_lo, v[27:28], v[29:30]
	s_waitcnt lgkmcnt(0)
	v_cmp_gt_i32_e64 s9, v4, v31
	s_andn2_b32 s48, s48, exec_lo
	s_and_b32 s9, vcc_lo, s9
	s_and_b32 s9, s9, exec_lo
	s_or_b32 s48, s48, s9
.LBB4_74:                               ;   in Loop: Header=BB4_67 Depth=3
	s_or_b32 exec_lo, exec_lo, s49
	s_and_saveexec_b32 s9, s48
	s_cbranch_execz .LBB4_76
; %bb.75:                               ;   in Loop: Header=BB4_67 Depth=3
	v_mov_b32_e32 v27, v29
	s_waitcnt lgkmcnt(0)
	v_mov_b32_e32 v4, v31
	v_mov_b32_e32 v28, v30
	ds_write_b32 v47, v31 offset:4096
	ds_write_b64 v46, v[29:30]
.LBB4_76:                               ;   in Loop: Header=BB4_67 Depth=3
	s_or_b32 exec_lo, exec_lo, s9
.LBB4_77:                               ;   in Loop: Header=BB4_67 Depth=3
	s_or_b32 exec_lo, exec_lo, s10
	s_waitcnt lgkmcnt(0)
	s_barrier
	buffer_gl0_inv
	s_and_saveexec_b32 s10, s2
	s_cbranch_execz .LBB4_83
; %bb.78:                               ;   in Loop: Header=BB4_67 Depth=3
	ds_read_b64 v[29:30], v46 offset:512
	ds_read_b32 v31, v47 offset:4352
	s_mov_b32 s49, exec_lo
	s_waitcnt lgkmcnt(1)
	v_cmp_lt_f64_e64 s48, v[27:28], v[29:30]
	v_cmpx_nlt_f64_e32 v[27:28], v[29:30]
	s_cbranch_execz .LBB4_80
; %bb.79:                               ;   in Loop: Header=BB4_67 Depth=3
	v_cmp_eq_f64_e32 vcc_lo, v[27:28], v[29:30]
	s_waitcnt lgkmcnt(0)
	v_cmp_gt_i32_e64 s9, v4, v31
	s_andn2_b32 s48, s48, exec_lo
	s_and_b32 s9, vcc_lo, s9
	s_and_b32 s9, s9, exec_lo
	s_or_b32 s48, s48, s9
.LBB4_80:                               ;   in Loop: Header=BB4_67 Depth=3
	s_or_b32 exec_lo, exec_lo, s49
	s_and_saveexec_b32 s9, s48
	s_cbranch_execz .LBB4_82
; %bb.81:                               ;   in Loop: Header=BB4_67 Depth=3
	v_mov_b32_e32 v27, v29
	s_waitcnt lgkmcnt(0)
	v_mov_b32_e32 v4, v31
	v_mov_b32_e32 v28, v30
	ds_write_b32 v47, v31 offset:4096
	ds_write_b64 v46, v[29:30]
.LBB4_82:                               ;   in Loop: Header=BB4_67 Depth=3
	s_or_b32 exec_lo, exec_lo, s9
.LBB4_83:                               ;   in Loop: Header=BB4_67 Depth=3
	s_or_b32 exec_lo, exec_lo, s10
	s_waitcnt lgkmcnt(0)
	s_barrier
	buffer_gl0_inv
	s_and_saveexec_b32 s84, s3
	s_cbranch_execz .LBB4_106
; %bb.84:                               ;   in Loop: Header=BB4_67 Depth=3
	ds_read_b64 v[29:30], v46 offset:256
	ds_read_b32 v31, v47 offset:4224
	s_mov_b32 s48, exec_lo
	s_waitcnt lgkmcnt(1)
	v_cmp_lt_f64_e64 s10, v[27:28], v[29:30]
	v_cmpx_nlt_f64_e32 v[27:28], v[29:30]
	s_cbranch_execz .LBB4_86
; %bb.85:                               ;   in Loop: Header=BB4_67 Depth=3
	v_cmp_eq_f64_e32 vcc_lo, v[27:28], v[29:30]
	s_waitcnt lgkmcnt(0)
	v_cmp_gt_i32_e64 s9, v4, v31
	s_andn2_b32 s10, s10, exec_lo
	s_and_b32 s9, vcc_lo, s9
	s_and_b32 s9, s9, exec_lo
	s_or_b32 s10, s10, s9
.LBB4_86:                               ;   in Loop: Header=BB4_67 Depth=3
	s_or_b32 exec_lo, exec_lo, s48
	s_and_saveexec_b32 s9, s10
	s_cbranch_execz .LBB4_88
; %bb.87:                               ;   in Loop: Header=BB4_67 Depth=3
	v_mov_b32_e32 v27, v29
	v_mov_b32_e32 v28, v30
	s_waitcnt lgkmcnt(0)
	v_mov_b32_e32 v4, v31
	ds_write_b64 v46, v[29:30]
	ds_write_b32 v47, v31 offset:4096
.LBB4_88:                               ;   in Loop: Header=BB4_67 Depth=3
	s_or_b32 exec_lo, exec_lo, s9
	ds_read_b64 v[29:30], v46 offset:128
	s_waitcnt lgkmcnt(1)
	ds_read_b32 v31, v47 offset:4160
	s_mov_b32 s48, exec_lo
	s_waitcnt lgkmcnt(1)
	v_cmp_lt_f64_e64 s10, v[27:28], v[29:30]
	v_cmpx_nlt_f64_e32 v[27:28], v[29:30]
	s_cbranch_execz .LBB4_90
; %bb.89:                               ;   in Loop: Header=BB4_67 Depth=3
	v_cmp_eq_f64_e32 vcc_lo, v[27:28], v[29:30]
	s_waitcnt lgkmcnt(0)
	v_cmp_gt_i32_e64 s9, v4, v31
	s_andn2_b32 s10, s10, exec_lo
	s_and_b32 s9, vcc_lo, s9
	s_and_b32 s9, s9, exec_lo
	s_or_b32 s10, s10, s9
.LBB4_90:                               ;   in Loop: Header=BB4_67 Depth=3
	s_or_b32 exec_lo, exec_lo, s48
	s_and_saveexec_b32 s9, s10
	s_cbranch_execz .LBB4_92
; %bb.91:                               ;   in Loop: Header=BB4_67 Depth=3
	v_mov_b32_e32 v27, v29
	v_mov_b32_e32 v28, v30
	s_waitcnt lgkmcnt(0)
	v_mov_b32_e32 v4, v31
	ds_write_b64 v46, v[29:30]
	ds_write_b32 v47, v31 offset:4096
.LBB4_92:                               ;   in Loop: Header=BB4_67 Depth=3
	s_or_b32 exec_lo, exec_lo, s9
	ds_read_b64 v[29:30], v46 offset:64
	s_waitcnt lgkmcnt(1)
	;; [unrolled: 29-line block ×3, first 2 shown]
	ds_read_b32 v31, v47 offset:4112
	s_mov_b32 s48, exec_lo
	s_waitcnt lgkmcnt(1)
	v_cmp_lt_f64_e64 s10, v[27:28], v[29:30]
	v_cmpx_nlt_f64_e32 v[27:28], v[29:30]
	s_cbranch_execz .LBB4_98
; %bb.97:                               ;   in Loop: Header=BB4_67 Depth=3
	v_cmp_eq_f64_e32 vcc_lo, v[27:28], v[29:30]
	s_waitcnt lgkmcnt(0)
	v_cmp_gt_i32_e64 s9, v4, v31
	s_andn2_b32 s10, s10, exec_lo
	s_and_b32 s9, vcc_lo, s9
	s_and_b32 s9, s9, exec_lo
	s_or_b32 s10, s10, s9
.LBB4_98:                               ;   in Loop: Header=BB4_67 Depth=3
	s_or_b32 exec_lo, exec_lo, s48
	s_and_saveexec_b32 s9, s10
	s_cbranch_execz .LBB4_100
; %bb.99:                               ;   in Loop: Header=BB4_67 Depth=3
	v_mov_b32_e32 v27, v29
	v_mov_b32_e32 v28, v30
	s_waitcnt lgkmcnt(0)
	v_mov_b32_e32 v4, v31
	ds_write_b64 v46, v[29:30]
	ds_write_b32 v47, v31 offset:4096
.LBB4_100:                              ;   in Loop: Header=BB4_67 Depth=3
	s_or_b32 exec_lo, exec_lo, s9
	ds_read_b64 v[29:30], v46 offset:16
	s_waitcnt lgkmcnt(1)
	ds_read_b32 v31, v47 offset:4104
	s_mov_b32 s48, exec_lo
	s_waitcnt lgkmcnt(1)
	v_cmp_lt_f64_e64 s10, v[27:28], v[29:30]
	v_cmpx_nlt_f64_e32 v[27:28], v[29:30]
	s_cbranch_execz .LBB4_102
; %bb.101:                              ;   in Loop: Header=BB4_67 Depth=3
	v_cmp_eq_f64_e32 vcc_lo, v[27:28], v[29:30]
	s_waitcnt lgkmcnt(0)
	v_cmp_gt_i32_e64 s9, v4, v31
	s_andn2_b32 s10, s10, exec_lo
	s_and_b32 s9, vcc_lo, s9
	s_and_b32 s9, s9, exec_lo
	s_or_b32 s10, s10, s9
.LBB4_102:                              ;   in Loop: Header=BB4_67 Depth=3
	s_or_b32 exec_lo, exec_lo, s48
	s_and_saveexec_b32 s9, s10
	s_cbranch_execz .LBB4_104
; %bb.103:                              ;   in Loop: Header=BB4_67 Depth=3
	v_mov_b32_e32 v27, v29
	v_mov_b32_e32 v28, v30
	s_waitcnt lgkmcnt(0)
	v_mov_b32_e32 v4, v31
	ds_write_b64 v46, v[29:30]
	ds_write_b32 v47, v31 offset:4096
.LBB4_104:                              ;   in Loop: Header=BB4_67 Depth=3
	s_or_b32 exec_lo, exec_lo, s9
	ds_read_b64 v[29:30], v46 offset:8
	s_waitcnt lgkmcnt(1)
	ds_read_b32 v31, v47 offset:4100
	s_waitcnt lgkmcnt(1)
	v_cmp_eq_f64_e32 vcc_lo, v[27:28], v[29:30]
	v_cmp_lt_f64_e64 s9, v[27:28], v[29:30]
	s_waitcnt lgkmcnt(0)
	v_cmp_gt_i32_e64 s10, v4, v31
	s_and_b32 s10, vcc_lo, s10
	s_or_b32 s9, s9, s10
	s_and_b32 exec_lo, exec_lo, s9
	s_cbranch_execz .LBB4_106
; %bb.105:                              ;   in Loop: Header=BB4_67 Depth=3
	ds_write_b64 v46, v[29:30]
	ds_write_b32 v47, v31 offset:4096
.LBB4_106:                              ;   in Loop: Header=BB4_67 Depth=3
	s_or_b32 exec_lo, exec_lo, s84
	s_waitcnt lgkmcnt(0)
	s_barrier
	buffer_gl0_inv
	s_and_saveexec_b32 s10, s5
	s_cbranch_execz .LBB4_109
; %bb.107:                              ;   in Loop: Header=BB4_67 Depth=3
	global_load_dwordx2 v[27:28], v3, s[76:77]
	ds_read_b64 v[29:30], v50
	s_mov_b32 s48, 0
	s_waitcnt vmcnt(0)
	v_cmp_lt_f64_e64 vcc_lo, s[20:21], |v[27:28]|
	v_and_b32_e32 v4, 0x7fffffff, v28
	v_cndmask_b32_e32 v27, s20, v27, vcc_lo
	v_cndmask_b32_e32 v28, s21, v4, vcc_lo
	v_mov_b32_e32 v4, v0
	v_mul_f64 v[27:28], v[21:22], v[27:28]
	s_waitcnt lgkmcnt(0)
	v_div_scale_f64 v[31:32], null, v[29:30], v[29:30], v[27:28]
	v_rcp_f64_e32 v[33:34], v[31:32]
	v_fma_f64 v[35:36], -v[31:32], v[33:34], 1.0
	v_fma_f64 v[33:34], v[33:34], v[35:36], v[33:34]
	v_fma_f64 v[35:36], -v[31:32], v[33:34], 1.0
	v_fma_f64 v[33:34], v[33:34], v[35:36], v[33:34]
	v_div_scale_f64 v[35:36], vcc_lo, v[27:28], v[29:30], v[27:28]
	v_mul_f64 v[37:38], v[35:36], v[33:34]
	v_fma_f64 v[31:32], -v[31:32], v[37:38], v[35:36]
	v_div_fmas_f64 v[31:32], v[31:32], v[33:34], v[37:38]
	v_div_fixup_f64 v[27:28], v[31:32], v[29:30], v[27:28]
	v_mov_b32_e32 v30, v8
	v_mov_b32_e32 v29, v7
	.p2align	6
.LBB4_108:                              ;   Parent Loop BB4_12 Depth=1
                                        ;     Parent Loop BB4_22 Depth=2
                                        ;       Parent Loop BB4_67 Depth=3
                                        ; =>      This Inner Loop Header: Depth=4
	global_load_dwordx2 v[31:32], v[29:30], off
	v_add_nc_u32_e32 v4, 0x100, v4
	v_cmp_lt_i32_e32 vcc_lo, s72, v4
	s_or_b32 s48, vcc_lo, s48
	s_waitcnt vmcnt(0)
	v_mul_f64 v[31:32], v[27:28], v[31:32]
	global_store_dwordx2 v[29:30], v[31:32], off
	v_add_co_u32 v29, s9, 0x800, v29
	v_add_co_ci_u32_e64 v30, null, 0, v30, s9
	s_andn2_b32 exec_lo, exec_lo, s48
	s_cbranch_execnz .LBB4_108
.LBB4_109:                              ;   in Loop: Header=BB4_67 Depth=3
	s_or_b32 exec_lo, exec_lo, s10
	s_waitcnt_vscnt null, 0x0
	s_barrier
	buffer_gl0_inv
	s_and_saveexec_b32 s93, s0
	s_cbranch_execz .LBB4_137
; %bb.110:                              ;   in Loop: Header=BB4_67 Depth=3
	s_clause 0x1
	global_load_dwordx2 v[31:32], v3, s[38:39] offset:8
	global_load_dwordx4 v[27:30], v3, s[30:31]
	s_andn2_b32 vcc_lo, exec_lo, s8
	s_mov_b64 s[84:85], s[42:43]
	s_mov_b64 s[86:87], s[56:57]
	s_mov_b32 s9, s71
	s_waitcnt vmcnt(1)
	v_max_f64 v[31:32], |v[31:32]|, |v[31:32]|
	s_waitcnt vmcnt(0)
	v_max_f64 v[29:30], |v[29:30]|, |v[29:30]|
	v_max_f64 v[27:28], |v[27:28]|, |v[27:28]|
	v_max_f64 v[29:30], v[29:30], v[31:32]
	v_max_f64 v[27:28], v[27:28], v[29:30]
	s_cbranch_vccnz .LBB4_112
	.p2align	6
.LBB4_111:                              ;   Parent Loop BB4_12 Depth=1
                                        ;     Parent Loop BB4_22 Depth=2
                                        ;       Parent Loop BB4_67 Depth=3
                                        ; =>      This Inner Loop Header: Depth=4
	s_add_u32 s48, s86, s27
	s_addc_u32 s49, s87, s62
	s_clause 0x2
	global_load_dwordx2 v[29:30], v3, s[86:87]
	global_load_dwordx2 v[31:32], v3, s[84:85]
	;; [unrolled: 1-line block ×3, first 2 shown]
	v_max_f64 v[27:28], v[27:28], v[27:28]
	s_add_i32 s9, s9, -1
	s_add_u32 s86, s86, 8
	s_addc_u32 s87, s87, 0
	s_add_u32 s84, s84, 8
	s_addc_u32 s85, s85, 0
	s_cmp_lg_u32 s9, 0
	s_waitcnt vmcnt(2)
	v_max_f64 v[29:30], |v[29:30]|, |v[29:30]|
	s_waitcnt vmcnt(1)
	v_max_f64 v[31:32], |v[31:32]|, |v[31:32]|
	;; [unrolled: 2-line block ×3, first 2 shown]
	v_max_f64 v[27:28], v[27:28], v[29:30]
	v_max_f64 v[29:30], v[33:34], v[31:32]
	;; [unrolled: 1-line block ×3, first 2 shown]
	s_cbranch_scc1 .LBB4_111
.LBB4_112:                              ;   in Loop: Header=BB4_67 Depth=3
	s_mov_b32 s9, s72
	s_mov_b64 s[84:85], s[18:19]
	s_mov_b64 s[86:87], s[40:41]
	;; [unrolled: 1-line block ×3, first 2 shown]
	s_inst_prefetch 0x1
	s_branch .LBB4_114
	.p2align	6
.LBB4_113:                              ;   in Loop: Header=BB4_114 Depth=4
	s_add_u32 s88, s88, 8
	s_addc_u32 s89, s89, 0
	s_add_u32 s86, s86, 8
	s_addc_u32 s87, s87, 0
	;; [unrolled: 2-line block ×3, first 2 shown]
	s_add_i32 s9, s9, -1
	s_cmp_lg_u32 s9, 0
	s_cbranch_scc0 .LBB4_118
.LBB4_114:                              ;   Parent Loop BB4_12 Depth=1
                                        ;     Parent Loop BB4_22 Depth=2
                                        ;       Parent Loop BB4_67 Depth=3
                                        ; =>      This Inner Loop Header: Depth=4
	global_load_dword v4, v3, s[84:85]
	s_waitcnt vmcnt(0)
	v_cmp_ne_u32_e32 vcc_lo, 0, v4
	s_cbranch_vccz .LBB4_116
; %bb.115:                              ;   in Loop: Header=BB4_114 Depth=4
	global_load_dwordx4 v[29:32], v3, s[88:89] offset:-8
	s_waitcnt vmcnt(0)
	global_store_dwordx2 v3, v[31:32], s[88:89] offset:-8
	global_load_dwordx2 v[33:34], v3, s[86:87]
	s_waitcnt vmcnt(0)
	v_fma_f64 v[29:30], -v[31:32], v[33:34], v[29:30]
	global_store_dwordx2 v3, v[29:30], s[88:89]
	s_cbranch_execnz .LBB4_113
	s_branch .LBB4_117
	.p2align	6
.LBB4_116:                              ;   in Loop: Header=BB4_114 Depth=4
.LBB4_117:                              ;   in Loop: Header=BB4_114 Depth=4
	s_clause 0x1
	global_load_dwordx2 v[33:34], v3, s[86:87]
	global_load_dwordx4 v[29:32], v3, s[88:89] offset:-8
	s_waitcnt vmcnt(0)
	v_fma_f64 v[29:30], -v[33:34], v[29:30], v[31:32]
	global_store_dwordx2 v3, v[29:30], s[88:89]
	s_branch .LBB4_113
.LBB4_118:                              ;   in Loop: Header=BB4_67 Depth=3
	s_inst_prefetch 0x2
	v_mul_f64 v[27:28], s[20:21], v[27:28]
	v_cmp_eq_f64_e32 vcc_lo, 0, v[27:28]
	v_readfirstlane_b32 s9, v28
	v_readfirstlane_b32 s10, v27
	s_and_b32 s48, vcc_lo, exec_lo
	s_cselect_b32 s48, s21, s9
	s_cselect_b32 s49, s20, s10
	s_and_b32 s88, s48, 0x7fffffff
	s_mov_b32 s89, s49
	s_mov_b32 s10, s72
	s_branch .LBB4_121
.LBB4_119:                              ;   in Loop: Header=BB4_121 Depth=4
	v_mov_b32_e32 v29, v37
	v_mov_b32_e32 v30, v38
.LBB4_120:                              ;   in Loop: Header=BB4_121 Depth=4
	v_div_scale_f64 v[31:32], null, v[29:30], v[29:30], v[27:28]
	s_add_i32 s9, s10, -1
	s_cmp_gt_i32 s10, 0
	s_mov_b32 s10, s9
	v_rcp_f64_e32 v[33:34], v[31:32]
	v_fma_f64 v[35:36], -v[31:32], v[33:34], 1.0
	v_fma_f64 v[33:34], v[33:34], v[35:36], v[33:34]
	v_fma_f64 v[35:36], -v[31:32], v[33:34], 1.0
	v_fma_f64 v[33:34], v[33:34], v[35:36], v[33:34]
	v_div_scale_f64 v[35:36], vcc_lo, v[27:28], v[29:30], v[27:28]
	v_mul_f64 v[37:38], v[35:36], v[33:34]
	v_fma_f64 v[31:32], -v[31:32], v[37:38], v[35:36]
	v_div_fmas_f64 v[31:32], v[31:32], v[33:34], v[37:38]
	v_div_fixup_f64 v[27:28], v[31:32], v[29:30], v[27:28]
	global_store_dwordx2 v3, v[27:28], s[84:85]
	s_cbranch_scc0 .LBB4_137
.LBB4_121:                              ;   Parent Loop BB4_12 Depth=1
                                        ;     Parent Loop BB4_22 Depth=2
                                        ;       Parent Loop BB4_67 Depth=3
                                        ; =>      This Loop Header: Depth=4
                                        ;           Child Loop BB4_127 Depth 5
	s_lshl_b64 s[86:87], s[10:11], 3
	s_add_u32 s84, s36, s86
	s_addc_u32 s85, s37, s87
	s_cmp_ge_i32 s10, s72
	global_load_dwordx2 v[27:28], v3, s[84:85]
	s_cbranch_scc1 .LBB4_123
; %bb.122:                              ;   in Loop: Header=BB4_121 Depth=4
	s_add_u32 s94, s38, s86
	s_addc_u32 s95, s39, s87
	s_clause 0x1
	global_load_dwordx2 v[29:30], v3, s[94:95] offset:8
	global_load_dwordx2 v[31:32], v3, s[84:85] offset:8
	s_waitcnt vmcnt(0)
	v_fma_f64 v[27:28], -v[29:30], v[31:32], v[27:28]
.LBB4_123:                              ;   in Loop: Header=BB4_121 Depth=4
	s_cmp_ge_i32 s10, s71
	s_cbranch_scc1 .LBB4_125
; %bb.124:                              ;   in Loop: Header=BB4_121 Depth=4
	s_add_u32 s94, s42, s86
	s_addc_u32 s95, s43, s87
	s_clause 0x1
	global_load_dwordx2 v[29:30], v3, s[94:95]
	global_load_dwordx2 v[31:32], v3, s[84:85] offset:16
	s_waitcnt vmcnt(0)
	v_fma_f64 v[27:28], -v[29:30], v[31:32], v[27:28]
.LBB4_125:                              ;   in Loop: Header=BB4_121 Depth=4
	s_add_u32 s86, s30, s86
	s_addc_u32 s87, s31, s87
	global_load_dwordx2 v[29:30], v3, s[86:87]
	s_waitcnt vmcnt(0)
	v_cmp_nlt_f64_e64 s9, |v[29:30]|, 1.0
	s_and_b32 vcc_lo, exec_lo, s9
	s_cbranch_vccnz .LBB4_120
; %bb.126:                              ;   in Loop: Header=BB4_121 Depth=4
	v_cmp_nle_f64_e32 vcc_lo, 0, v[29:30]
	v_mul_f64 v[31:32], s[22:23], |v[27:28]|
	s_xor_b32 s9, s88, 0x80000000
	s_and_b32 s86, s48, 0x7fffffff
	v_and_b32_e32 v36, 0x7fffffff, v30
	v_mov_b32_e32 v35, v29
	s_and_b32 s87, vcc_lo, exec_lo
	s_cselect_b32 s87, s9, s86
	s_cselect_b32 s86, s89, s49
	v_mov_b32_e32 v33, s86
	v_mov_b32_e32 v34, s87
	.p2align	6
.LBB4_127:                              ;   Parent Loop BB4_12 Depth=1
                                        ;     Parent Loop BB4_22 Depth=2
                                        ;       Parent Loop BB4_67 Depth=3
                                        ;         Parent Loop BB4_121 Depth=4
                                        ; =>        This Inner Loop Header: Depth=5
	v_cmp_ngt_f64_e32 vcc_lo, s[22:23], v[35:36]
	s_mov_b32 s9, -1
	s_mov_b32 s86, 0
	s_mov_b32 s87, -1
	s_cbranch_vccnz .LBB4_131
; %bb.128:                              ;   in Loop: Header=BB4_127 Depth=5
	s_andn2_b32 vcc_lo, exec_lo, s87
	s_cbranch_vccz .LBB4_132
.LBB4_129:                              ;   in Loop: Header=BB4_127 Depth=5
	s_andn2_b32 vcc_lo, exec_lo, s86
	s_cbranch_vccnz .LBB4_133
.LBB4_130:                              ;   in Loop: Header=BB4_127 Depth=5
	v_add_f64 v[37:38], v[29:30], v[33:34]
	v_add_f64 v[33:34], v[33:34], v[33:34]
	s_mov_b32 s9, -1
	v_cmp_nlt_f64_e64 s86, |v[37:38]|, 1.0
	v_and_b32_e32 v36, 0x7fffffff, v38
	v_mov_b32_e32 v35, v37
	s_andn2_b32 vcc_lo, exec_lo, s86
	s_cbranch_vccnz .LBB4_134
	s_branch .LBB4_135
	.p2align	6
.LBB4_131:                              ;   in Loop: Header=BB4_127 Depth=5
	v_mul_f64 v[37:38], v[13:14], v[35:36]
	v_cmp_gt_f64_e64 s86, |v[27:28]|, v[37:38]
	s_cbranch_execnz .LBB4_129
.LBB4_132:                              ;   in Loop: Header=BB4_127 Depth=5
	v_cmp_gt_f64_e32 vcc_lo, v[31:32], v[35:36]
	v_cmp_eq_f64_e64 s9, 0, v[29:30]
	s_or_b32 s86, s9, vcc_lo
	s_mov_b32 s9, 0
	s_andn2_b32 vcc_lo, exec_lo, s86
	s_cbranch_vccz .LBB4_130
.LBB4_133:                              ;   in Loop: Header=BB4_121 Depth=4
	v_mov_b32_e32 v38, v30
	v_mov_b32_e32 v37, v29
                                        ; implicit-def: $vgpr33_vgpr34
                                        ; implicit-def: $vgpr35_vgpr36
	s_branch .LBB4_135
.LBB4_134:                              ;   in Loop: Header=BB4_127 Depth=5
	v_mov_b32_e32 v29, v37
	v_mov_b32_e32 v30, v38
	s_branch .LBB4_127
.LBB4_135:                              ;   in Loop: Header=BB4_121 Depth=4
	s_andn2_b32 vcc_lo, exec_lo, s9
	s_cbranch_vccz .LBB4_119
; %bb.136:                              ;   in Loop: Header=BB4_121 Depth=4
	v_mul_f64 v[27:28], v[13:14], v[27:28]
	v_mul_f64 v[37:38], v[13:14], v[29:30]
	s_branch .LBB4_119
.LBB4_137:                              ;   in Loop: Header=BB4_67 Depth=3
	s_or_b32 exec_lo, exec_lo, s93
	s_andn2_b32 vcc_lo, exec_lo, s83
	s_waitcnt_vscnt null, 0x0
	s_barrier
	buffer_gl0_inv
	s_cbranch_vccnz .LBB4_147
; %bb.138:                              ;   in Loop: Header=BB4_67 Depth=3
	s_and_b32 s9, s90, exec_lo
	s_cselect_b32 s9, s82, s69
	s_mov_b32 s69, s82
	s_cmp_eq_u32 s9, s82
	s_cbranch_scc1 .LBB4_147
; %bb.139:                              ;   in Loop: Header=BB4_67 Depth=3
	s_cmp_lt_i32 s9, s82
	s_cselect_b32 s10, -1, 0
	s_and_b32 s48, s0, s10
	s_and_saveexec_b32 s10, s48
	s_cbranch_execz .LBB4_146
; %bb.140:                              ;   in Loop: Header=BB4_67 Depth=3
	s_mul_i32 s48, s29, s9
	s_mov_b32 s49, s9
	s_add_i32 s48, s68, s48
	s_inst_prefetch 0x1
	.p2align	6
.LBB4_141:                              ;   Parent Loop BB4_12 Depth=1
                                        ;     Parent Loop BB4_22 Depth=2
                                        ;       Parent Loop BB4_67 Depth=3
                                        ; =>      This Loop Header: Depth=4
                                        ;           Child Loop BB4_142 Depth 5
                                        ;           Child Loop BB4_144 Depth 5
	v_mov_b32_e32 v27, 0
	v_mov_b32_e32 v28, 0
	s_mov_b64 s[84:85], s[36:37]
	s_mov_b32 s86, s48
	s_mov_b32 s69, s73
.LBB4_142:                              ;   Parent Loop BB4_12 Depth=1
                                        ;     Parent Loop BB4_22 Depth=2
                                        ;       Parent Loop BB4_67 Depth=3
                                        ;         Parent Loop BB4_141 Depth=4
                                        ; =>        This Inner Loop Header: Depth=5
	s_ashr_i32 s87, s86, 31
	s_lshl_b64 s[88:89], s[86:87], 4
	s_add_u32 s88, s28, s88
	s_addc_u32 s89, s26, s89
	s_clause 0x1
	global_load_dwordx2 v[29:30], v3, s[84:85]
	global_load_dwordx2 v[31:32], v3, s[88:89]
	s_add_i32 s69, s69, -1
	s_add_i32 s86, s86, 1
	s_add_u32 s84, s84, 8
	s_addc_u32 s85, s85, 0
	s_cmp_lg_u32 s69, 0
	s_waitcnt vmcnt(0)
	v_fma_f64 v[27:28], v[29:30], v[31:32], v[27:28]
	s_cbranch_scc1 .LBB4_142
; %bb.143:                              ;   in Loop: Header=BB4_141 Depth=4
	s_mov_b32 s69, 0
	s_mov_b64 s[84:85], s[36:37]
	.p2align	6
.LBB4_144:                              ;   Parent Loop BB4_12 Depth=1
                                        ;     Parent Loop BB4_22 Depth=2
                                        ;       Parent Loop BB4_67 Depth=3
                                        ;         Parent Loop BB4_141 Depth=4
                                        ; =>        This Inner Loop Header: Depth=5
	s_add_i32 s86, s48, s69
	global_load_dwordx2 v[29:30], v3, s[84:85]
	s_ashr_i32 s87, s86, 31
	s_lshl_b64 s[86:87], s[86:87], 4
	s_add_u32 s86, s28, s86
	s_addc_u32 s87, s26, s87
	s_add_i32 s69, s69, 1
	global_load_dwordx2 v[31:32], v3, s[86:87]
	s_waitcnt vmcnt(0)
	v_fma_f64 v[29:30], -v[27:28], v[31:32], v[29:30]
	global_store_dwordx2 v3, v[29:30], s[84:85]
	s_add_u32 s84, s84, 8
	s_addc_u32 s85, s85, 0
	s_cmp_lg_u32 s73, s69
	s_cbranch_scc1 .LBB4_144
; %bb.145:                              ;   in Loop: Header=BB4_141 Depth=4
	s_add_i32 s49, s49, 1
	s_add_i32 s48, s48, s29
	s_cmp_lt_i32 s49, s82
	s_cbranch_scc1 .LBB4_141
.LBB4_146:                              ;   in Loop: Header=BB4_67 Depth=3
	s_inst_prefetch 0x2
	s_or_b32 exec_lo, exec_lo, s10
	s_mov_b32 s69, s9
	s_waitcnt_vscnt null, 0x0
	s_barrier
	buffer_gl0_inv
.LBB4_147:                              ;   in Loop: Header=BB4_67 Depth=3
	v_mov_b32_e32 v27, 0
	v_mov_b32_e32 v28, 0
	v_bfrev_b32_e32 v4, -2
	s_and_saveexec_b32 s10, s7
	s_cbranch_execz .LBB4_151
; %bb.148:                              ;   in Loop: Header=BB4_67 Depth=3
	v_mov_b32_e32 v27, 0
	v_mov_b32_e32 v30, v8
	v_bfrev_b32_e32 v4, -2
	v_mov_b32_e32 v31, v0
	v_mov_b32_e32 v28, 0
	;; [unrolled: 1-line block ×3, first 2 shown]
	s_mov_b32 s48, 0
	.p2align	6
.LBB4_149:                              ;   Parent Loop BB4_12 Depth=1
                                        ;     Parent Loop BB4_22 Depth=2
                                        ;       Parent Loop BB4_67 Depth=3
                                        ; =>      This Inner Loop Header: Depth=4
	global_load_dwordx2 v[32:33], v[29:30], off
	v_cmp_eq_u32_e32 vcc_lo, 0x7fffffff, v4
	v_add_nc_u32_e32 v34, 1, v31
	v_add_nc_u32_e32 v31, 0x100, v31
	v_add_co_u32 v29, s9, 0x800, v29
	v_add_co_ci_u32_e64 v30, null, 0, v30, s9
	v_cmp_ge_u32_e64 s9, v31, v51
	s_waitcnt vmcnt(0)
	v_cmp_lt_f64_e64 s49, v[27:28], |v[32:33]|
	v_and_b32_e32 v33, 0x7fffffff, v33
	s_or_b32 vcc_lo, s49, vcc_lo
	s_or_b32 s48, s9, s48
	v_cndmask_b32_e32 v27, v27, v32, vcc_lo
	v_cndmask_b32_e32 v28, v28, v33, vcc_lo
	;; [unrolled: 1-line block ×3, first 2 shown]
	s_andn2_b32 exec_lo, exec_lo, s48
	s_cbranch_execnz .LBB4_149
; %bb.150:                              ;   in Loop: Header=BB4_67 Depth=3
	s_or_b32 exec_lo, exec_lo, s48
.LBB4_151:                              ;   in Loop: Header=BB4_67 Depth=3
	s_or_b32 exec_lo, exec_lo, s10
	ds_write_b64 v46, v[27:28]
	ds_write_b32 v47, v4 offset:4096
	s_waitcnt lgkmcnt(0)
	s_barrier
	buffer_gl0_inv
	s_and_saveexec_b32 s10, s1
	s_cbranch_execz .LBB4_157
; %bb.152:                              ;   in Loop: Header=BB4_67 Depth=3
	ds_read_b64 v[29:30], v46 offset:1024
	ds_read_b32 v31, v47 offset:4608
	s_mov_b32 s49, exec_lo
	s_waitcnt lgkmcnt(1)
	v_cmp_lt_f64_e64 s48, v[27:28], v[29:30]
	v_cmpx_nlt_f64_e32 v[27:28], v[29:30]
	s_cbranch_execz .LBB4_154
; %bb.153:                              ;   in Loop: Header=BB4_67 Depth=3
	v_cmp_eq_f64_e32 vcc_lo, v[27:28], v[29:30]
	s_waitcnt lgkmcnt(0)
	v_cmp_gt_i32_e64 s9, v4, v31
	s_andn2_b32 s48, s48, exec_lo
	s_and_b32 s9, vcc_lo, s9
	s_and_b32 s9, s9, exec_lo
	s_or_b32 s48, s48, s9
.LBB4_154:                              ;   in Loop: Header=BB4_67 Depth=3
	s_or_b32 exec_lo, exec_lo, s49
	s_and_saveexec_b32 s9, s48
	s_cbranch_execz .LBB4_156
; %bb.155:                              ;   in Loop: Header=BB4_67 Depth=3
	v_mov_b32_e32 v27, v29
	s_waitcnt lgkmcnt(0)
	v_mov_b32_e32 v4, v31
	v_mov_b32_e32 v28, v30
	ds_write_b32 v47, v31 offset:4096
	ds_write_b64 v46, v[29:30]
.LBB4_156:                              ;   in Loop: Header=BB4_67 Depth=3
	s_or_b32 exec_lo, exec_lo, s9
.LBB4_157:                              ;   in Loop: Header=BB4_67 Depth=3
	s_or_b32 exec_lo, exec_lo, s10
	s_waitcnt lgkmcnt(0)
	s_barrier
	buffer_gl0_inv
	s_and_saveexec_b32 s10, s2
	s_cbranch_execz .LBB4_163
; %bb.158:                              ;   in Loop: Header=BB4_67 Depth=3
	ds_read_b64 v[29:30], v46 offset:512
	ds_read_b32 v31, v47 offset:4352
	s_mov_b32 s49, exec_lo
	s_waitcnt lgkmcnt(1)
	v_cmp_lt_f64_e64 s48, v[27:28], v[29:30]
	v_cmpx_nlt_f64_e32 v[27:28], v[29:30]
	s_cbranch_execz .LBB4_160
; %bb.159:                              ;   in Loop: Header=BB4_67 Depth=3
	v_cmp_eq_f64_e32 vcc_lo, v[27:28], v[29:30]
	s_waitcnt lgkmcnt(0)
	v_cmp_gt_i32_e64 s9, v4, v31
	s_andn2_b32 s48, s48, exec_lo
	s_and_b32 s9, vcc_lo, s9
	s_and_b32 s9, s9, exec_lo
	s_or_b32 s48, s48, s9
.LBB4_160:                              ;   in Loop: Header=BB4_67 Depth=3
	s_or_b32 exec_lo, exec_lo, s49
	s_and_saveexec_b32 s9, s48
	s_cbranch_execz .LBB4_162
; %bb.161:                              ;   in Loop: Header=BB4_67 Depth=3
	v_mov_b32_e32 v27, v29
	s_waitcnt lgkmcnt(0)
	v_mov_b32_e32 v4, v31
	v_mov_b32_e32 v28, v30
	ds_write_b32 v47, v31 offset:4096
	ds_write_b64 v46, v[29:30]
.LBB4_162:                              ;   in Loop: Header=BB4_67 Depth=3
	s_or_b32 exec_lo, exec_lo, s9
.LBB4_163:                              ;   in Loop: Header=BB4_67 Depth=3
	s_or_b32 exec_lo, exec_lo, s10
	s_waitcnt lgkmcnt(0)
	s_barrier
	buffer_gl0_inv
	s_and_saveexec_b32 s84, s3
	s_cbranch_execz .LBB4_186
; %bb.164:                              ;   in Loop: Header=BB4_67 Depth=3
	ds_read_b64 v[29:30], v46 offset:256
	ds_read_b32 v31, v47 offset:4224
	s_mov_b32 s48, exec_lo
	s_waitcnt lgkmcnt(1)
	v_cmp_lt_f64_e64 s10, v[27:28], v[29:30]
	v_cmpx_nlt_f64_e32 v[27:28], v[29:30]
	s_cbranch_execz .LBB4_166
; %bb.165:                              ;   in Loop: Header=BB4_67 Depth=3
	v_cmp_eq_f64_e32 vcc_lo, v[27:28], v[29:30]
	s_waitcnt lgkmcnt(0)
	v_cmp_gt_i32_e64 s9, v4, v31
	s_andn2_b32 s10, s10, exec_lo
	s_and_b32 s9, vcc_lo, s9
	s_and_b32 s9, s9, exec_lo
	s_or_b32 s10, s10, s9
.LBB4_166:                              ;   in Loop: Header=BB4_67 Depth=3
	s_or_b32 exec_lo, exec_lo, s48
	s_and_saveexec_b32 s9, s10
	s_cbranch_execz .LBB4_168
; %bb.167:                              ;   in Loop: Header=BB4_67 Depth=3
	v_mov_b32_e32 v27, v29
	v_mov_b32_e32 v28, v30
	s_waitcnt lgkmcnt(0)
	v_mov_b32_e32 v4, v31
	ds_write_b64 v46, v[29:30]
	ds_write_b32 v47, v31 offset:4096
.LBB4_168:                              ;   in Loop: Header=BB4_67 Depth=3
	s_or_b32 exec_lo, exec_lo, s9
	ds_read_b64 v[29:30], v46 offset:128
	s_waitcnt lgkmcnt(1)
	ds_read_b32 v31, v47 offset:4160
	s_mov_b32 s48, exec_lo
	s_waitcnt lgkmcnt(1)
	v_cmp_lt_f64_e64 s10, v[27:28], v[29:30]
	v_cmpx_nlt_f64_e32 v[27:28], v[29:30]
	s_cbranch_execz .LBB4_170
; %bb.169:                              ;   in Loop: Header=BB4_67 Depth=3
	v_cmp_eq_f64_e32 vcc_lo, v[27:28], v[29:30]
	s_waitcnt lgkmcnt(0)
	v_cmp_gt_i32_e64 s9, v4, v31
	s_andn2_b32 s10, s10, exec_lo
	s_and_b32 s9, vcc_lo, s9
	s_and_b32 s9, s9, exec_lo
	s_or_b32 s10, s10, s9
.LBB4_170:                              ;   in Loop: Header=BB4_67 Depth=3
	s_or_b32 exec_lo, exec_lo, s48
	s_and_saveexec_b32 s9, s10
	s_cbranch_execz .LBB4_172
; %bb.171:                              ;   in Loop: Header=BB4_67 Depth=3
	v_mov_b32_e32 v27, v29
	v_mov_b32_e32 v28, v30
	s_waitcnt lgkmcnt(0)
	v_mov_b32_e32 v4, v31
	ds_write_b64 v46, v[29:30]
	ds_write_b32 v47, v31 offset:4096
.LBB4_172:                              ;   in Loop: Header=BB4_67 Depth=3
	s_or_b32 exec_lo, exec_lo, s9
	ds_read_b64 v[29:30], v46 offset:64
	s_waitcnt lgkmcnt(1)
	;; [unrolled: 29-line block ×5, first 2 shown]
	ds_read_b32 v31, v47 offset:4100
	s_waitcnt lgkmcnt(1)
	v_cmp_eq_f64_e32 vcc_lo, v[27:28], v[29:30]
	v_cmp_lt_f64_e64 s9, v[27:28], v[29:30]
	s_waitcnt lgkmcnt(0)
	v_cmp_gt_i32_e64 s10, v4, v31
	s_and_b32 s10, vcc_lo, s10
	s_or_b32 s9, s9, s10
	s_and_b32 exec_lo, exec_lo, s9
	s_cbranch_execz .LBB4_186
; %bb.185:                              ;   in Loop: Header=BB4_67 Depth=3
	ds_write_b64 v46, v[29:30]
	ds_write_b32 v47, v31 offset:4096
.LBB4_186:                              ;   in Loop: Header=BB4_67 Depth=3
	s_or_b32 exec_lo, exec_lo, s84
	s_waitcnt lgkmcnt(0)
	s_barrier
	buffer_gl0_inv
	ds_read_b64 v[27:28], v50
	s_add_i32 s9, s92, 1
	s_waitcnt lgkmcnt(0)
	v_cmp_ge_f64_e32 vcc_lo, v[27:28], v[17:18]
	v_cndmask_b32_e64 v4, 0, 1, vcc_lo
	v_readfirstlane_b32 s10, v4
	s_add_i32 s91, s91, s10
	s_cmp_lt_u32 s92, 4
	s_cselect_b32 s48, -1, 0
	s_cmp_lt_u32 s91, 2
	s_cselect_b32 s10, -1, 0
	s_and_b32 s48, s48, s10
	s_and_b32 vcc_lo, exec_lo, s48
	s_cbranch_vccz .LBB4_188
; %bb.187:                              ;   in Loop: Header=BB4_67 Depth=3
	s_mov_b32 s92, s9
	s_branch .LBB4_67
.LBB4_188:                              ;   in Loop: Header=BB4_22 Depth=2
	s_and_b32 s10, s63, s10
	s_and_saveexec_b32 s9, s10
	s_cbranch_execz .LBB4_190
; %bb.189:                              ;   in Loop: Header=BB4_22 Depth=2
	ds_read_b32 v27, v3
	s_add_i32 s10, s82, 1
	v_mov_b32_e32 v4, s10
	s_waitcnt lgkmcnt(0)
	v_ashrrev_i32_e32 v28, 31, v27
	v_lshlrev_b64 v[28:29], 2, v[27:28]
	v_add_nc_u32_e32 v27, 1, v27
	ds_write_b32 v3, v27
	v_add_co_u32 v28, vcc_lo, s52, v28
	v_add_co_ci_u32_e64 v29, null, s53, v29, vcc_lo
	global_store_dword v[28:29], v4, off
.LBB4_190:                              ;   in Loop: Header=BB4_22 Depth=2
	s_or_b32 exec_lo, exec_lo, s9
	v_mov_b32_e32 v27, 0
	v_mov_b32_e32 v28, 0
	v_bfrev_b32_e32 v4, -2
	s_and_saveexec_b32 s10, s7
	s_cbranch_execz .LBB4_194
; %bb.191:                              ;   in Loop: Header=BB4_22 Depth=2
	v_mov_b32_e32 v27, 0
	v_mov_b32_e32 v30, v8
	;; [unrolled: 1-line block ×3, first 2 shown]
	v_bfrev_b32_e32 v4, -2
	v_mov_b32_e32 v29, v7
	v_mov_b32_e32 v31, v0
	s_mov_b32 s48, 0
	.p2align	6
.LBB4_192:                              ;   Parent Loop BB4_12 Depth=1
                                        ;     Parent Loop BB4_22 Depth=2
                                        ; =>    This Inner Loop Header: Depth=3
	global_load_dwordx2 v[32:33], v[29:30], off
	v_cmp_eq_u32_e32 vcc_lo, 0x7fffffff, v4
	v_add_nc_u32_e32 v34, 1, v31
	v_add_nc_u32_e32 v31, 0x100, v31
	v_add_co_u32 v29, s9, 0x800, v29
	v_add_co_ci_u32_e64 v30, null, 0, v30, s9
	v_cmp_ge_u32_e64 s9, v31, v51
	s_waitcnt vmcnt(0)
	v_cmp_lt_f64_e64 s49, v[27:28], |v[32:33]|
	v_and_b32_e32 v33, 0x7fffffff, v33
	s_or_b32 vcc_lo, s49, vcc_lo
	s_or_b32 s48, s9, s48
	v_cndmask_b32_e32 v27, v27, v32, vcc_lo
	v_cndmask_b32_e32 v28, v28, v33, vcc_lo
	;; [unrolled: 1-line block ×3, first 2 shown]
	s_andn2_b32 exec_lo, exec_lo, s48
	s_cbranch_execnz .LBB4_192
; %bb.193:                              ;   in Loop: Header=BB4_22 Depth=2
	s_or_b32 exec_lo, exec_lo, s48
.LBB4_194:                              ;   in Loop: Header=BB4_22 Depth=2
	s_or_b32 exec_lo, exec_lo, s10
	ds_write_b64 v46, v[27:28]
	ds_write_b32 v47, v4 offset:4096
	s_waitcnt lgkmcnt(0)
	s_waitcnt_vscnt null, 0x0
	s_barrier
	buffer_gl0_inv
	s_and_saveexec_b32 s10, s1
	s_cbranch_execz .LBB4_200
; %bb.195:                              ;   in Loop: Header=BB4_22 Depth=2
	ds_read_b64 v[29:30], v46 offset:1024
	ds_read_b32 v31, v47 offset:4608
	s_mov_b32 s49, exec_lo
	s_waitcnt lgkmcnt(1)
	v_cmp_lt_f64_e64 s48, v[27:28], v[29:30]
	v_cmpx_nlt_f64_e32 v[27:28], v[29:30]
	s_cbranch_execz .LBB4_197
; %bb.196:                              ;   in Loop: Header=BB4_22 Depth=2
	v_cmp_eq_f64_e32 vcc_lo, v[27:28], v[29:30]
	s_waitcnt lgkmcnt(0)
	v_cmp_gt_i32_e64 s9, v4, v31
	s_andn2_b32 s48, s48, exec_lo
	s_and_b32 s9, vcc_lo, s9
	s_and_b32 s9, s9, exec_lo
	s_or_b32 s48, s48, s9
.LBB4_197:                              ;   in Loop: Header=BB4_22 Depth=2
	s_or_b32 exec_lo, exec_lo, s49
	s_and_saveexec_b32 s9, s48
	s_cbranch_execz .LBB4_199
; %bb.198:                              ;   in Loop: Header=BB4_22 Depth=2
	v_mov_b32_e32 v27, v29
	s_waitcnt lgkmcnt(0)
	v_mov_b32_e32 v4, v31
	v_mov_b32_e32 v28, v30
	ds_write_b64 v46, v[29:30]
	ds_write_b32 v47, v31 offset:4096
.LBB4_199:                              ;   in Loop: Header=BB4_22 Depth=2
	s_or_b32 exec_lo, exec_lo, s9
.LBB4_200:                              ;   in Loop: Header=BB4_22 Depth=2
	s_or_b32 exec_lo, exec_lo, s10
	s_waitcnt lgkmcnt(0)
	s_barrier
	buffer_gl0_inv
	s_and_saveexec_b32 s10, s2
	s_cbranch_execz .LBB4_206
; %bb.201:                              ;   in Loop: Header=BB4_22 Depth=2
	ds_read_b64 v[29:30], v46 offset:512
	ds_read_b32 v31, v47 offset:4352
	s_mov_b32 s49, exec_lo
	s_waitcnt lgkmcnt(1)
	v_cmp_lt_f64_e64 s48, v[27:28], v[29:30]
	v_cmpx_nlt_f64_e32 v[27:28], v[29:30]
	s_cbranch_execz .LBB4_203
; %bb.202:                              ;   in Loop: Header=BB4_22 Depth=2
	v_cmp_eq_f64_e32 vcc_lo, v[27:28], v[29:30]
	s_waitcnt lgkmcnt(0)
	v_cmp_gt_i32_e64 s9, v4, v31
	s_andn2_b32 s48, s48, exec_lo
	s_and_b32 s9, vcc_lo, s9
	s_and_b32 s9, s9, exec_lo
	s_or_b32 s48, s48, s9
.LBB4_203:                              ;   in Loop: Header=BB4_22 Depth=2
	s_or_b32 exec_lo, exec_lo, s49
	s_and_saveexec_b32 s9, s48
	s_cbranch_execz .LBB4_205
; %bb.204:                              ;   in Loop: Header=BB4_22 Depth=2
	v_mov_b32_e32 v27, v29
	s_waitcnt lgkmcnt(0)
	v_mov_b32_e32 v4, v31
	v_mov_b32_e32 v28, v30
	ds_write_b64 v46, v[29:30]
	ds_write_b32 v47, v31 offset:4096
.LBB4_205:                              ;   in Loop: Header=BB4_22 Depth=2
	s_or_b32 exec_lo, exec_lo, s9
.LBB4_206:                              ;   in Loop: Header=BB4_22 Depth=2
	s_or_b32 exec_lo, exec_lo, s10
	s_waitcnt lgkmcnt(0)
	s_barrier
	buffer_gl0_inv
	s_and_saveexec_b32 s48, s3
	s_cbranch_execz .LBB4_229
; %bb.207:                              ;   in Loop: Header=BB4_22 Depth=2
	ds_read_b64 v[29:30], v46 offset:256
	ds_read_b32 v31, v47 offset:4224
	s_mov_b32 s49, exec_lo
	s_waitcnt lgkmcnt(1)
	v_cmp_lt_f64_e64 s10, v[27:28], v[29:30]
	v_cmpx_nlt_f64_e32 v[27:28], v[29:30]
	s_cbranch_execz .LBB4_209
; %bb.208:                              ;   in Loop: Header=BB4_22 Depth=2
	v_cmp_eq_f64_e32 vcc_lo, v[27:28], v[29:30]
	s_waitcnt lgkmcnt(0)
	v_cmp_gt_i32_e64 s9, v4, v31
	s_andn2_b32 s10, s10, exec_lo
	s_and_b32 s9, vcc_lo, s9
	s_and_b32 s9, s9, exec_lo
	s_or_b32 s10, s10, s9
.LBB4_209:                              ;   in Loop: Header=BB4_22 Depth=2
	s_or_b32 exec_lo, exec_lo, s49
	s_and_saveexec_b32 s9, s10
	s_cbranch_execz .LBB4_211
; %bb.210:                              ;   in Loop: Header=BB4_22 Depth=2
	v_mov_b32_e32 v27, v29
	v_mov_b32_e32 v28, v30
	s_waitcnt lgkmcnt(0)
	v_mov_b32_e32 v4, v31
	ds_write_b64 v46, v[29:30]
	ds_write_b32 v47, v31 offset:4096
.LBB4_211:                              ;   in Loop: Header=BB4_22 Depth=2
	s_or_b32 exec_lo, exec_lo, s9
	ds_read_b64 v[29:30], v46 offset:128
	s_waitcnt lgkmcnt(1)
	ds_read_b32 v31, v47 offset:4160
	s_mov_b32 s49, exec_lo
	s_waitcnt lgkmcnt(1)
	v_cmp_lt_f64_e64 s10, v[27:28], v[29:30]
	v_cmpx_nlt_f64_e32 v[27:28], v[29:30]
	s_cbranch_execz .LBB4_213
; %bb.212:                              ;   in Loop: Header=BB4_22 Depth=2
	v_cmp_eq_f64_e32 vcc_lo, v[27:28], v[29:30]
	s_waitcnt lgkmcnt(0)
	v_cmp_gt_i32_e64 s9, v4, v31
	s_andn2_b32 s10, s10, exec_lo
	s_and_b32 s9, vcc_lo, s9
	s_and_b32 s9, s9, exec_lo
	s_or_b32 s10, s10, s9
.LBB4_213:                              ;   in Loop: Header=BB4_22 Depth=2
	s_or_b32 exec_lo, exec_lo, s49
	s_and_saveexec_b32 s9, s10
	s_cbranch_execz .LBB4_215
; %bb.214:                              ;   in Loop: Header=BB4_22 Depth=2
	v_mov_b32_e32 v27, v29
	v_mov_b32_e32 v28, v30
	s_waitcnt lgkmcnt(0)
	v_mov_b32_e32 v4, v31
	ds_write_b64 v46, v[29:30]
	ds_write_b32 v47, v31 offset:4096
.LBB4_215:                              ;   in Loop: Header=BB4_22 Depth=2
	s_or_b32 exec_lo, exec_lo, s9
	ds_read_b64 v[29:30], v46 offset:64
	s_waitcnt lgkmcnt(1)
	;; [unrolled: 29-line block ×5, first 2 shown]
	ds_read_b32 v31, v47 offset:4100
	s_waitcnt lgkmcnt(1)
	v_cmp_eq_f64_e32 vcc_lo, v[27:28], v[29:30]
	v_cmp_lt_f64_e64 s9, v[27:28], v[29:30]
	s_waitcnt lgkmcnt(0)
	v_cmp_gt_i32_e64 s10, v4, v31
	s_and_b32 s10, vcc_lo, s10
	s_or_b32 s9, s9, s10
	s_and_b32 exec_lo, exec_lo, s9
	s_cbranch_execz .LBB4_229
; %bb.228:                              ;   in Loop: Header=BB4_22 Depth=2
	ds_write_b64 v46, v[29:30]
	ds_write_b32 v47, v31 offset:4096
.LBB4_229:                              ;   in Loop: Header=BB4_22 Depth=2
	s_or_b32 exec_lo, exec_lo, s48
	v_mov_b32_e32 v27, 0
	v_mov_b32_e32 v28, 0
	s_and_saveexec_b32 s10, s7
	s_cbranch_execz .LBB4_233
; %bb.230:                              ;   in Loop: Header=BB4_22 Depth=2
	v_mov_b32_e32 v27, 0
	v_mov_b32_e32 v30, v8
	;; [unrolled: 1-line block ×5, first 2 shown]
	s_mov_b32 s48, 0
.LBB4_231:                              ;   Parent Loop BB4_12 Depth=1
                                        ;     Parent Loop BB4_22 Depth=2
                                        ; =>    This Inner Loop Header: Depth=3
	global_load_dwordx2 v[31:32], v[29:30], off
	v_add_nc_u32_e32 v4, 0x100, v4
	v_add_co_u32 v29, s9, 0x800, v29
	v_add_co_ci_u32_e64 v30, null, 0, v30, s9
	v_cmp_ge_u32_e32 vcc_lo, v4, v51
	s_or_b32 s48, vcc_lo, s48
	s_waitcnt vmcnt(0)
	v_fma_f64 v[27:28], v[31:32], v[31:32], v[27:28]
	s_andn2_b32 exec_lo, exec_lo, s48
	s_cbranch_execnz .LBB4_231
; %bb.232:                              ;   in Loop: Header=BB4_22 Depth=2
	s_or_b32 exec_lo, exec_lo, s48
.LBB4_233:                              ;   in Loop: Header=BB4_22 Depth=2
	s_or_b32 exec_lo, exec_lo, s10
	v_add_nc_u32_e32 v4, v47, v45
	ds_write_b64 v4, v[27:28] offset:2048
	s_waitcnt lgkmcnt(0)
	s_barrier
	buffer_gl0_inv
	s_and_saveexec_b32 s9, s1
	s_cbranch_execz .LBB4_235
; %bb.234:                              ;   in Loop: Header=BB4_22 Depth=2
	ds_read_b64 v[29:30], v4 offset:3072
	s_waitcnt lgkmcnt(0)
	v_add_f64 v[27:28], v[27:28], v[29:30]
.LBB4_235:                              ;   in Loop: Header=BB4_22 Depth=2
	s_or_b32 exec_lo, exec_lo, s9
	s_barrier
	buffer_gl0_inv
	s_and_saveexec_b32 s9, s1
; %bb.236:                              ;   in Loop: Header=BB4_22 Depth=2
	ds_write_b64 v4, v[27:28] offset:2048
; %bb.237:                              ;   in Loop: Header=BB4_22 Depth=2
	s_or_b32 exec_lo, exec_lo, s9
	s_waitcnt lgkmcnt(0)
	s_barrier
	buffer_gl0_inv
	s_and_saveexec_b32 s9, s2
	s_cbranch_execz .LBB4_239
; %bb.238:                              ;   in Loop: Header=BB4_22 Depth=2
	ds_read_b64 v[29:30], v4 offset:2560
	s_waitcnt lgkmcnt(0)
	v_add_f64 v[27:28], v[27:28], v[29:30]
.LBB4_239:                              ;   in Loop: Header=BB4_22 Depth=2
	s_or_b32 exec_lo, exec_lo, s9
	s_barrier
	buffer_gl0_inv
	s_and_saveexec_b32 s9, s2
; %bb.240:                              ;   in Loop: Header=BB4_22 Depth=2
	ds_write_b64 v4, v[27:28] offset:2048
; %bb.241:                              ;   in Loop: Header=BB4_22 Depth=2
	s_or_b32 exec_lo, exec_lo, s9
	s_waitcnt lgkmcnt(0)
	s_barrier
	buffer_gl0_inv
	s_and_saveexec_b32 s9, s3
	s_cbranch_execz .LBB4_243
; %bb.242:                              ;   in Loop: Header=BB4_22 Depth=2
	v_add_nc_u32_e32 v31, 0x800, v4
	ds_read2_b64 v[27:30], v31 offset1:32
	s_waitcnt lgkmcnt(0)
	v_add_f64 v[27:28], v[27:28], v[29:30]
	ds_write_b64 v4, v[27:28] offset:2048
	s_waitcnt lgkmcnt(0)
	buffer_gl1_inv
	buffer_gl0_inv
	ds_read2_b64 v[27:30], v31 offset1:16
	s_waitcnt lgkmcnt(0)
	v_add_f64 v[27:28], v[27:28], v[29:30]
	ds_write_b64 v4, v[27:28] offset:2048
	s_waitcnt lgkmcnt(0)
	buffer_gl1_inv
	buffer_gl0_inv
	;; [unrolled: 7-line block ×4, first 2 shown]
	ds_read2_b64 v[27:30], v31 offset1:2
	s_waitcnt lgkmcnt(0)
	v_add_f64 v[27:28], v[27:28], v[29:30]
	v_add_nc_u32_e32 v29, 0x800, v4
	ds_write_b64 v4, v[27:28] offset:2048
	s_waitcnt lgkmcnt(0)
	buffer_gl1_inv
	buffer_gl0_inv
	ds_read2_b64 v[27:30], v29 offset1:1
	s_waitcnt lgkmcnt(0)
	v_add_f64 v[27:28], v[27:28], v[29:30]
	ds_write_b64 v4, v[27:28] offset:2048
	s_waitcnt lgkmcnt(0)
	buffer_gl1_inv
	buffer_gl0_inv
.LBB4_243:                              ;   in Loop: Header=BB4_22 Depth=2
	s_or_b32 exec_lo, exec_lo, s9
	s_and_saveexec_b32 s9, s0
	s_cbranch_execz .LBB4_245
; %bb.244:                              ;   in Loop: Header=BB4_22 Depth=2
	ds_read_b64 v[27:28], v50 offset:2048
	s_waitcnt lgkmcnt(0)
	v_cmp_gt_f64_e32 vcc_lo, 0x10000000, v[27:28]
	s_and_b32 s10, vcc_lo, exec_lo
	s_cselect_b32 s10, 0x100, 0
	v_ldexp_f64 v[27:28], v[27:28], s10
	s_cselect_b32 s10, 0xffffff80, 0
	v_rsq_f64_e32 v[29:30], v[27:28]
	v_cmp_class_f64_e64 vcc_lo, v[27:28], 0x260
	v_mul_f64 v[31:32], v[27:28], v[29:30]
	v_mul_f64 v[29:30], v[29:30], 0.5
	v_fma_f64 v[33:34], -v[29:30], v[31:32], 0.5
	v_fma_f64 v[31:32], v[31:32], v[33:34], v[31:32]
	v_fma_f64 v[29:30], v[29:30], v[33:34], v[29:30]
	v_fma_f64 v[33:34], -v[31:32], v[31:32], v[27:28]
	v_fma_f64 v[31:32], v[33:34], v[29:30], v[31:32]
	v_fma_f64 v[33:34], -v[31:32], v[31:32], v[27:28]
	v_fma_f64 v[29:30], v[33:34], v[29:30], v[31:32]
	v_ldexp_f64 v[29:30], v[29:30], s10
	v_cndmask_b32_e32 v28, v30, v28, vcc_lo
	v_cndmask_b32_e32 v27, v29, v27, vcc_lo
	ds_write_b64 v50, v[27:28] offset:2048
.LBB4_245:                              ;   in Loop: Header=BB4_22 Depth=2
	s_or_b32 exec_lo, exec_lo, s9
	s_waitcnt lgkmcnt(0)
	s_barrier
	buffer_gl0_inv
	ds_read_b32 v29, v50 offset:4096
	ds_read_b64 v[27:28], v50 offset:2048
	s_waitcnt lgkmcnt(1)
	v_ashrrev_i32_e32 v30, 31, v29
	v_lshlrev_b64 v[29:30], 3, v[29:30]
	v_add_co_u32 v29, vcc_lo, s36, v29
	v_add_co_ci_u32_e64 v30, null, s37, v30, vcc_lo
	global_load_dwordx2 v[29:30], v[29:30], off offset:-8
	s_waitcnt vmcnt(0) lgkmcnt(0)
	s_barrier
	buffer_gl0_inv
	s_and_saveexec_b32 s10, s5
	s_cbranch_execz .LBB4_248
; %bb.246:                              ;   in Loop: Header=BB4_22 Depth=2
	v_cmp_nle_f64_e32 vcc_lo, 0, v[29:30]
	s_mov_b32 s9, 0xbff00000
	s_mov_b32 s84, 0
	v_mov_b32_e32 v4, v0
	s_and_b32 s48, vcc_lo, exec_lo
	s_cselect_b32 s85, s9, 0x3ff00000
	v_div_scale_f64 v[29:30], null, v[27:28], v[27:28], s[84:85]
	v_rcp_f64_e32 v[31:32], v[29:30]
	v_fma_f64 v[33:34], -v[29:30], v[31:32], 1.0
	v_fma_f64 v[31:32], v[31:32], v[33:34], v[31:32]
	v_fma_f64 v[33:34], -v[29:30], v[31:32], 1.0
	v_fma_f64 v[31:32], v[31:32], v[33:34], v[31:32]
	v_div_scale_f64 v[33:34], vcc_lo, s[84:85], v[27:28], s[84:85]
	v_mul_f64 v[35:36], v[33:34], v[31:32]
	v_fma_f64 v[29:30], -v[29:30], v[35:36], v[33:34]
	v_div_fmas_f64 v[29:30], v[29:30], v[31:32], v[35:36]
	v_div_fixup_f64 v[27:28], v[29:30], v[27:28], s[84:85]
	v_mov_b32_e32 v30, v8
	v_mov_b32_e32 v29, v7
	.p2align	6
.LBB4_247:                              ;   Parent Loop BB4_12 Depth=1
                                        ;     Parent Loop BB4_22 Depth=2
                                        ; =>    This Inner Loop Header: Depth=3
	global_load_dwordx2 v[31:32], v[29:30], off
	v_add_nc_u32_e32 v4, 0x100, v4
	v_cmp_lt_i32_e32 vcc_lo, s72, v4
	s_or_b32 s84, vcc_lo, s84
	s_waitcnt vmcnt(0)
	v_mul_f64 v[31:32], v[27:28], v[31:32]
	global_store_dwordx2 v[29:30], v[31:32], off
	v_add_co_u32 v29, s9, 0x800, v29
	v_add_co_ci_u32_e64 v30, null, 0, v30, s9
	s_andn2_b32 exec_lo, exec_lo, s84
	s_cbranch_execnz .LBB4_247
.LBB4_248:                              ;   in Loop: Header=BB4_22 Depth=2
	s_or_b32 exec_lo, exec_lo, s10
	v_mov_b32_e32 v28, v2
	v_mov_b32_e32 v27, v1
	s_waitcnt_vscnt null, 0x0
	s_barrier
	buffer_gl0_inv
	s_and_saveexec_b32 s10, s4
	s_cbranch_execz .LBB4_253
.LBB4_249:                              ;   in Loop: Header=BB4_22 Depth=2
	v_mov_b32_e32 v29, v0
	s_mov_b32 s48, 0
	s_inst_prefetch 0x1
	s_branch .LBB4_251
	.p2align	6
.LBB4_250:                              ;   in Loop: Header=BB4_251 Depth=3
	s_or_b32 exec_lo, exec_lo, s9
	v_add_nc_u32_e32 v30, s35, v29
	v_add_nc_u32_e32 v29, 0x100, v29
	v_mov_b32_e32 v4, v3
	v_ashrrev_i32_e32 v31, 31, v30
	v_cmp_le_i32_e32 vcc_lo, s24, v29
	v_lshlrev_b64 v[30:31], 4, v[30:31]
	s_or_b32 s48, vcc_lo, s48
	v_add_co_u32 v30, s9, s28, v30
	v_add_co_ci_u32_e64 v31, null, s26, v31, s9
	s_waitcnt vmcnt(0)
	global_store_dwordx4 v[30:31], v[1:4], off
	s_andn2_b32 exec_lo, exec_lo, s48
	s_cbranch_execz .LBB4_253
.LBB4_251:                              ;   Parent Loop BB4_12 Depth=1
                                        ;     Parent Loop BB4_22 Depth=2
                                        ; =>    This Inner Loop Header: Depth=3
	v_cmp_le_i32_e32 vcc_lo, s68, v29
	v_cmp_gt_i32_e64 s9, s70, v29
	v_mov_b32_e32 v1, 0
	v_mov_b32_e32 v2, 0
	s_and_b32 s49, vcc_lo, s9
	s_and_saveexec_b32 s9, s49
	s_cbranch_execz .LBB4_250
; %bb.252:                              ;   in Loop: Header=BB4_251 Depth=3
	v_add_nc_u32_e32 v2, s13, v29
	v_lshlrev_b64 v[1:2], 3, v[2:3]
	v_add_co_u32 v1, vcc_lo, s36, v1
	v_add_co_ci_u32_e64 v2, null, s37, v2, vcc_lo
	global_load_dwordx2 v[1:2], v[1:2], off
	s_branch .LBB4_250
.LBB4_253:                              ;   in Loop: Header=BB4_22 Depth=2
	s_inst_prefetch 0x2
	s_or_b32 exec_lo, exec_lo, s10
	s_add_i32 s82, s82, 1
	s_add_i32 s34, s34, 1
	;; [unrolled: 1-line block ×3, first 2 shown]
	s_cmp_ge_i32 s82, s44
	s_waitcnt_vscnt null, 0x0
	s_barrier
	s_cselect_b32 s9, -1, 0
	s_mov_b32 s10, s25
	buffer_gl0_inv
	s_and_b32 vcc_lo, exec_lo, s9
	s_cbranch_vccz .LBB4_22
	s_branch .LBB4_10
.LBB4_254:
	s_and_saveexec_b32 s1, s0
	s_cbranch_execz .LBB4_256
; %bb.255:
	v_mov_b32_e32 v0, 0
	v_readlane_b32 s0, v58, 0
	v_readlane_b32 s1, v58, 1
	ds_read_b32 v1, v0
	s_add_u32 s0, s14, s0
	s_addc_u32 s1, s15, s1
	s_waitcnt lgkmcnt(0)
	global_store_dword v0, v1, s[0:1]
.LBB4_256:
	s_endpgm
	.section	.rodata,"a",@progbits
	.p2align	6, 0x0
	.amdhsa_kernel _ZN9rocsolver6v33100L12stein_kernelI19rocblas_complex_numIdEdPS3_EEviPT0_lS6_lPiS6_lS7_lS7_lT1_iilS7_lS7_S6_S7_S5_S5_
		.amdhsa_group_segment_fixed_size 8
		.amdhsa_private_segment_fixed_size 0
		.amdhsa_kernarg_size 176
		.amdhsa_user_sgpr_count 6
		.amdhsa_user_sgpr_private_segment_buffer 1
		.amdhsa_user_sgpr_dispatch_ptr 0
		.amdhsa_user_sgpr_queue_ptr 0
		.amdhsa_user_sgpr_kernarg_segment_ptr 1
		.amdhsa_user_sgpr_dispatch_id 0
		.amdhsa_user_sgpr_flat_scratch_init 0
		.amdhsa_user_sgpr_private_segment_size 0
		.amdhsa_wavefront_size32 1
		.amdhsa_uses_dynamic_stack 0
		.amdhsa_system_sgpr_private_segment_wavefront_offset 0
		.amdhsa_system_sgpr_workgroup_id_x 1
		.amdhsa_system_sgpr_workgroup_id_y 1
		.amdhsa_system_sgpr_workgroup_id_z 0
		.amdhsa_system_sgpr_workgroup_info 0
		.amdhsa_system_vgpr_workitem_id 0
		.amdhsa_next_free_vgpr 59
		.amdhsa_next_free_sgpr 105
		.amdhsa_reserve_vcc 1
		.amdhsa_reserve_flat_scratch 0
		.amdhsa_float_round_mode_32 0
		.amdhsa_float_round_mode_16_64 0
		.amdhsa_float_denorm_mode_32 3
		.amdhsa_float_denorm_mode_16_64 3
		.amdhsa_dx10_clamp 1
		.amdhsa_ieee_mode 1
		.amdhsa_fp16_overflow 0
		.amdhsa_workgroup_processor_mode 1
		.amdhsa_memory_ordered 1
		.amdhsa_forward_progress 1
		.amdhsa_shared_vgpr_count 0
		.amdhsa_exception_fp_ieee_invalid_op 0
		.amdhsa_exception_fp_denorm_src 0
		.amdhsa_exception_fp_ieee_div_zero 0
		.amdhsa_exception_fp_ieee_overflow 0
		.amdhsa_exception_fp_ieee_underflow 0
		.amdhsa_exception_fp_ieee_inexact 0
		.amdhsa_exception_int_div_zero 0
	.end_amdhsa_kernel
	.section	.text._ZN9rocsolver6v33100L12stein_kernelI19rocblas_complex_numIdEdPS3_EEviPT0_lS6_lPiS6_lS7_lS7_lT1_iilS7_lS7_S6_S7_S5_S5_,"axG",@progbits,_ZN9rocsolver6v33100L12stein_kernelI19rocblas_complex_numIdEdPS3_EEviPT0_lS6_lPiS6_lS7_lS7_lT1_iilS7_lS7_S6_S7_S5_S5_,comdat
.Lfunc_end4:
	.size	_ZN9rocsolver6v33100L12stein_kernelI19rocblas_complex_numIdEdPS3_EEviPT0_lS6_lPiS6_lS7_lS7_lT1_iilS7_lS7_S6_S7_S5_S5_, .Lfunc_end4-_ZN9rocsolver6v33100L12stein_kernelI19rocblas_complex_numIdEdPS3_EEviPT0_lS6_lPiS6_lS7_lS7_lT1_iilS7_lS7_S6_S7_S5_S5_
                                        ; -- End function
	.set _ZN9rocsolver6v33100L12stein_kernelI19rocblas_complex_numIdEdPS3_EEviPT0_lS6_lPiS6_lS7_lS7_lT1_iilS7_lS7_S6_S7_S5_S5_.num_vgpr, 59
	.set _ZN9rocsolver6v33100L12stein_kernelI19rocblas_complex_numIdEdPS3_EEviPT0_lS6_lPiS6_lS7_lS7_lT1_iilS7_lS7_S6_S7_S5_S5_.num_agpr, 0
	.set _ZN9rocsolver6v33100L12stein_kernelI19rocblas_complex_numIdEdPS3_EEviPT0_lS6_lPiS6_lS7_lS7_lT1_iilS7_lS7_S6_S7_S5_S5_.numbered_sgpr, 105
	.set _ZN9rocsolver6v33100L12stein_kernelI19rocblas_complex_numIdEdPS3_EEviPT0_lS6_lPiS6_lS7_lS7_lT1_iilS7_lS7_S6_S7_S5_S5_.num_named_barrier, 0
	.set _ZN9rocsolver6v33100L12stein_kernelI19rocblas_complex_numIdEdPS3_EEviPT0_lS6_lPiS6_lS7_lS7_lT1_iilS7_lS7_S6_S7_S5_S5_.private_seg_size, 0
	.set _ZN9rocsolver6v33100L12stein_kernelI19rocblas_complex_numIdEdPS3_EEviPT0_lS6_lPiS6_lS7_lS7_lT1_iilS7_lS7_S6_S7_S5_S5_.uses_vcc, 1
	.set _ZN9rocsolver6v33100L12stein_kernelI19rocblas_complex_numIdEdPS3_EEviPT0_lS6_lPiS6_lS7_lS7_lT1_iilS7_lS7_S6_S7_S5_S5_.uses_flat_scratch, 0
	.set _ZN9rocsolver6v33100L12stein_kernelI19rocblas_complex_numIdEdPS3_EEviPT0_lS6_lPiS6_lS7_lS7_lT1_iilS7_lS7_S6_S7_S5_S5_.has_dyn_sized_stack, 0
	.set _ZN9rocsolver6v33100L12stein_kernelI19rocblas_complex_numIdEdPS3_EEviPT0_lS6_lPiS6_lS7_lS7_lT1_iilS7_lS7_S6_S7_S5_S5_.has_recursion, 0
	.set _ZN9rocsolver6v33100L12stein_kernelI19rocblas_complex_numIdEdPS3_EEviPT0_lS6_lPiS6_lS7_lS7_lT1_iilS7_lS7_S6_S7_S5_S5_.has_indirect_call, 0
	.section	.AMDGPU.csdata,"",@progbits
; Kernel info:
; codeLenInByte = 11340
; TotalNumSgprs: 107
; NumVgprs: 59
; ScratchSize: 0
; MemoryBound: 1
; FloatMode: 240
; IeeeMode: 1
; LDSByteSize: 8 bytes/workgroup (compile time only)
; SGPRBlocks: 0
; VGPRBlocks: 7
; NumSGPRsForWavesPerEU: 107
; NumVGPRsForWavesPerEU: 59
; Occupancy: 16
; WaveLimiterHint : 1
; COMPUTE_PGM_RSRC2:SCRATCH_EN: 0
; COMPUTE_PGM_RSRC2:USER_SGPR: 6
; COMPUTE_PGM_RSRC2:TRAP_HANDLER: 0
; COMPUTE_PGM_RSRC2:TGID_X_EN: 1
; COMPUTE_PGM_RSRC2:TGID_Y_EN: 1
; COMPUTE_PGM_RSRC2:TGID_Z_EN: 0
; COMPUTE_PGM_RSRC2:TIDIG_COMP_CNT: 0
	.section	.AMDGPU.gpr_maximums,"",@progbits
	.set amdgpu.max_num_vgpr, 0
	.set amdgpu.max_num_agpr, 0
	.set amdgpu.max_num_sgpr, 0
	.section	.AMDGPU.csdata,"",@progbits
	.type	__hip_cuid_34f0a44d52442533,@object ; @__hip_cuid_34f0a44d52442533
	.section	.bss,"aw",@nobits
	.globl	__hip_cuid_34f0a44d52442533
__hip_cuid_34f0a44d52442533:
	.byte	0                               ; 0x0
	.size	__hip_cuid_34f0a44d52442533, 1

	.ident	"AMD clang version 22.0.0git (https://github.com/RadeonOpenCompute/llvm-project roc-7.2.4 26084 f58b06dce1f9c15707c5f808fd002e18c2accf7e)"
	.section	".note.GNU-stack","",@progbits
	.addrsig
	.addrsig_sym __hip_cuid_34f0a44d52442533
	.amdgpu_metadata
---
amdhsa.kernels:
  - .args:
      - .address_space:  global
        .offset:         0
        .size:           8
        .value_kind:     global_buffer
      - .offset:         8
        .size:           4
        .value_kind:     by_value
      - .offset:         12
        .size:           4
        .value_kind:     by_value
      - .offset:         16
        .size:           4
        .value_kind:     by_value
      - .offset:         24
        .size:           4
        .value_kind:     hidden_block_count_x
      - .offset:         28
        .size:           4
        .value_kind:     hidden_block_count_y
      - .offset:         32
        .size:           4
        .value_kind:     hidden_block_count_z
      - .offset:         36
        .size:           2
        .value_kind:     hidden_group_size_x
      - .offset:         38
        .size:           2
        .value_kind:     hidden_group_size_y
      - .offset:         40
        .size:           2
        .value_kind:     hidden_group_size_z
      - .offset:         42
        .size:           2
        .value_kind:     hidden_remainder_x
      - .offset:         44
        .size:           2
        .value_kind:     hidden_remainder_y
      - .offset:         46
        .size:           2
        .value_kind:     hidden_remainder_z
      - .offset:         64
        .size:           8
        .value_kind:     hidden_global_offset_x
      - .offset:         72
        .size:           8
        .value_kind:     hidden_global_offset_y
      - .offset:         80
        .size:           8
        .value_kind:     hidden_global_offset_z
      - .offset:         88
        .size:           2
        .value_kind:     hidden_grid_dims
    .group_segment_fixed_size: 0
    .kernarg_segment_align: 8
    .kernarg_segment_size: 280
    .language:       OpenCL C
    .language_version:
      - 2
      - 0
    .max_flat_workgroup_size: 1024
    .name:           _ZN9rocsolver6v33100L10reset_infoIiiiEEvPT_T0_T1_S4_
    .private_segment_fixed_size: 0
    .sgpr_count:     10
    .sgpr_spill_count: 0
    .symbol:         _ZN9rocsolver6v33100L10reset_infoIiiiEEvPT_T0_T1_S4_.kd
    .uniform_work_group_size: 1
    .uses_dynamic_stack: false
    .vgpr_count:     5
    .vgpr_spill_count: 0
    .wavefront_size: 32
    .workgroup_processor_mode: 1
  - .args:
      - .offset:         0
        .size:           4
        .value_kind:     by_value
      - .address_space:  global
        .offset:         8
        .size:           8
        .value_kind:     global_buffer
      - .offset:         16
        .size:           8
        .value_kind:     by_value
      - .address_space:  global
        .offset:         24
        .size:           8
        .value_kind:     global_buffer
      - .offset:         32
        .size:           8
        .value_kind:     by_value
      - .address_space:  global
        .offset:         40
        .size:           8
        .value_kind:     global_buffer
      - .address_space:  global
        .offset:         48
        .size:           8
        .value_kind:     global_buffer
      - .offset:         56
        .size:           8
        .value_kind:     by_value
      - .address_space:  global
        .offset:         64
        .size:           8
        .value_kind:     global_buffer
      - .offset:         72
        .size:           8
        .value_kind:     by_value
      - .address_space:  global
        .offset:         80
        .size:           8
        .value_kind:     global_buffer
      - .offset:         88
        .size:           8
        .value_kind:     by_value
      - .address_space:  global
        .offset:         96
        .size:           8
        .value_kind:     global_buffer
      - .offset:         104
        .size:           4
        .value_kind:     by_value
      - .offset:         108
        .size:           4
        .value_kind:     by_value
      - .offset:         112
        .size:           8
        .value_kind:     by_value
      - .address_space:  global
        .offset:         120
        .size:           8
        .value_kind:     global_buffer
      - .offset:         128
        .size:           8
        .value_kind:     by_value
      - .address_space:  global
        .offset:         136
        .size:           8
        .value_kind:     global_buffer
      - .address_space:  global
        .offset:         144
        .size:           8
        .value_kind:     global_buffer
      - .address_space:  global
        .offset:         152
        .size:           8
        .value_kind:     global_buffer
      - .offset:         160
        .size:           4
        .value_kind:     by_value
      - .offset:         164
        .size:           4
        .value_kind:     by_value
    .group_segment_fixed_size: 8
    .kernarg_segment_align: 8
    .kernarg_segment_size: 168
    .language:       OpenCL C
    .language_version:
      - 2
      - 0
    .max_flat_workgroup_size: 256
    .name:           _ZN9rocsolver6v33100L12stein_kernelIffPfEEviPT0_lS4_lPiS4_lS5_lS5_lT1_iilS5_lS5_S4_S5_S3_S3_
    .private_segment_fixed_size: 0
    .sgpr_count:     107
    .sgpr_spill_count: 0
    .symbol:         _ZN9rocsolver6v33100L12stein_kernelIffPfEEviPT0_lS4_lPiS4_lS5_lS5_lT1_iilS5_lS5_S4_S5_S3_S3_.kd
    .uniform_work_group_size: 1
    .uses_dynamic_stack: false
    .vgpr_count:     40
    .vgpr_spill_count: 0
    .wavefront_size: 32
    .workgroup_processor_mode: 1
  - .args:
      - .offset:         0
        .size:           4
        .value_kind:     by_value
      - .address_space:  global
        .offset:         8
        .size:           8
        .value_kind:     global_buffer
      - .offset:         16
        .size:           8
        .value_kind:     by_value
      - .address_space:  global
        .offset:         24
        .size:           8
        .value_kind:     global_buffer
      - .offset:         32
        .size:           8
        .value_kind:     by_value
      - .address_space:  global
        .offset:         40
        .size:           8
        .value_kind:     global_buffer
      - .address_space:  global
        .offset:         48
        .size:           8
        .value_kind:     global_buffer
      - .offset:         56
        .size:           8
        .value_kind:     by_value
      - .address_space:  global
        .offset:         64
        .size:           8
        .value_kind:     global_buffer
      - .offset:         72
        .size:           8
        .value_kind:     by_value
      - .address_space:  global
        .offset:         80
        .size:           8
        .value_kind:     global_buffer
      - .offset:         88
        .size:           8
        .value_kind:     by_value
      - .address_space:  global
        .offset:         96
        .size:           8
        .value_kind:     global_buffer
      - .offset:         104
        .size:           4
        .value_kind:     by_value
      - .offset:         108
        .size:           4
        .value_kind:     by_value
      - .offset:         112
        .size:           8
        .value_kind:     by_value
      - .address_space:  global
        .offset:         120
        .size:           8
        .value_kind:     global_buffer
      - .offset:         128
        .size:           8
        .value_kind:     by_value
      - .address_space:  global
        .offset:         136
        .size:           8
        .value_kind:     global_buffer
      - .address_space:  global
        .offset:         144
        .size:           8
        .value_kind:     global_buffer
      - .address_space:  global
        .offset:         152
        .size:           8
        .value_kind:     global_buffer
      - .offset:         160
        .size:           8
        .value_kind:     by_value
      - .offset:         168
        .size:           8
        .value_kind:     by_value
    .group_segment_fixed_size: 8
    .kernarg_segment_align: 8
    .kernarg_segment_size: 176
    .language:       OpenCL C
    .language_version:
      - 2
      - 0
    .max_flat_workgroup_size: 256
    .name:           _ZN9rocsolver6v33100L12stein_kernelIddPdEEviPT0_lS4_lPiS4_lS5_lS5_lT1_iilS5_lS5_S4_S5_S3_S3_
    .private_segment_fixed_size: 0
    .sgpr_count:     107
    .sgpr_spill_count: 16
    .symbol:         _ZN9rocsolver6v33100L12stein_kernelIddPdEEviPT0_lS4_lPiS4_lS5_lS5_lT1_iilS5_lS5_S4_S5_S3_S3_.kd
    .uniform_work_group_size: 1
    .uses_dynamic_stack: false
    .vgpr_count:     59
    .vgpr_spill_count: 0
    .wavefront_size: 32
    .workgroup_processor_mode: 1
  - .args:
      - .offset:         0
        .size:           4
        .value_kind:     by_value
      - .address_space:  global
        .offset:         8
        .size:           8
        .value_kind:     global_buffer
      - .offset:         16
        .size:           8
        .value_kind:     by_value
      - .address_space:  global
        .offset:         24
        .size:           8
        .value_kind:     global_buffer
      - .offset:         32
        .size:           8
        .value_kind:     by_value
      - .address_space:  global
        .offset:         40
        .size:           8
        .value_kind:     global_buffer
      - .address_space:  global
        .offset:         48
        .size:           8
        .value_kind:     global_buffer
      - .offset:         56
        .size:           8
        .value_kind:     by_value
      - .address_space:  global
        .offset:         64
        .size:           8
        .value_kind:     global_buffer
      - .offset:         72
        .size:           8
        .value_kind:     by_value
      - .address_space:  global
        .offset:         80
        .size:           8
        .value_kind:     global_buffer
      - .offset:         88
        .size:           8
        .value_kind:     by_value
      - .address_space:  global
        .offset:         96
        .size:           8
        .value_kind:     global_buffer
      - .offset:         104
        .size:           4
        .value_kind:     by_value
      - .offset:         108
        .size:           4
        .value_kind:     by_value
      - .offset:         112
        .size:           8
        .value_kind:     by_value
      - .address_space:  global
        .offset:         120
        .size:           8
        .value_kind:     global_buffer
      - .offset:         128
        .size:           8
        .value_kind:     by_value
      - .address_space:  global
        .offset:         136
        .size:           8
        .value_kind:     global_buffer
      - .address_space:  global
        .offset:         144
        .size:           8
        .value_kind:     global_buffer
      - .address_space:  global
        .offset:         152
        .size:           8
        .value_kind:     global_buffer
      - .offset:         160
        .size:           4
        .value_kind:     by_value
      - .offset:         164
        .size:           4
        .value_kind:     by_value
    .group_segment_fixed_size: 8
    .kernarg_segment_align: 8
    .kernarg_segment_size: 168
    .language:       OpenCL C
    .language_version:
      - 2
      - 0
    .max_flat_workgroup_size: 256
    .name:           _ZN9rocsolver6v33100L12stein_kernelI19rocblas_complex_numIfEfPS3_EEviPT0_lS6_lPiS6_lS7_lS7_lT1_iilS7_lS7_S6_S7_S5_S5_
    .private_segment_fixed_size: 0
    .sgpr_count:     107
    .sgpr_spill_count: 0
    .symbol:         _ZN9rocsolver6v33100L12stein_kernelI19rocblas_complex_numIfEfPS3_EEviPT0_lS6_lPiS6_lS7_lS7_lT1_iilS7_lS7_S6_S7_S5_S5_.kd
    .uniform_work_group_size: 1
    .uses_dynamic_stack: false
    .vgpr_count:     40
    .vgpr_spill_count: 0
    .wavefront_size: 32
    .workgroup_processor_mode: 1
  - .args:
      - .offset:         0
        .size:           4
        .value_kind:     by_value
      - .address_space:  global
        .offset:         8
        .size:           8
        .value_kind:     global_buffer
      - .offset:         16
        .size:           8
        .value_kind:     by_value
      - .address_space:  global
        .offset:         24
        .size:           8
        .value_kind:     global_buffer
      - .offset:         32
        .size:           8
        .value_kind:     by_value
      - .address_space:  global
        .offset:         40
        .size:           8
        .value_kind:     global_buffer
      - .address_space:  global
        .offset:         48
        .size:           8
        .value_kind:     global_buffer
      - .offset:         56
        .size:           8
        .value_kind:     by_value
      - .address_space:  global
        .offset:         64
        .size:           8
        .value_kind:     global_buffer
      - .offset:         72
        .size:           8
        .value_kind:     by_value
      - .address_space:  global
        .offset:         80
        .size:           8
        .value_kind:     global_buffer
      - .offset:         88
        .size:           8
        .value_kind:     by_value
      - .address_space:  global
        .offset:         96
        .size:           8
        .value_kind:     global_buffer
      - .offset:         104
        .size:           4
        .value_kind:     by_value
      - .offset:         108
        .size:           4
        .value_kind:     by_value
      - .offset:         112
        .size:           8
        .value_kind:     by_value
      - .address_space:  global
        .offset:         120
        .size:           8
        .value_kind:     global_buffer
      - .offset:         128
        .size:           8
        .value_kind:     by_value
      - .address_space:  global
        .offset:         136
        .size:           8
        .value_kind:     global_buffer
      - .address_space:  global
        .offset:         144
        .size:           8
        .value_kind:     global_buffer
      - .address_space:  global
        .offset:         152
        .size:           8
        .value_kind:     global_buffer
      - .offset:         160
        .size:           8
        .value_kind:     by_value
      - .offset:         168
        .size:           8
        .value_kind:     by_value
    .group_segment_fixed_size: 8
    .kernarg_segment_align: 8
    .kernarg_segment_size: 176
    .language:       OpenCL C
    .language_version:
      - 2
      - 0
    .max_flat_workgroup_size: 256
    .name:           _ZN9rocsolver6v33100L12stein_kernelI19rocblas_complex_numIdEdPS3_EEviPT0_lS6_lPiS6_lS7_lS7_lT1_iilS7_lS7_S6_S7_S5_S5_
    .private_segment_fixed_size: 0
    .sgpr_count:     107
    .sgpr_spill_count: 16
    .symbol:         _ZN9rocsolver6v33100L12stein_kernelI19rocblas_complex_numIdEdPS3_EEviPT0_lS6_lPiS6_lS7_lS7_lT1_iilS7_lS7_S6_S7_S5_S5_.kd
    .uniform_work_group_size: 1
    .uses_dynamic_stack: false
    .vgpr_count:     59
    .vgpr_spill_count: 0
    .wavefront_size: 32
    .workgroup_processor_mode: 1
amdhsa.target:   amdgcn-amd-amdhsa--gfx1030
amdhsa.version:
  - 1
  - 2
...

	.end_amdgpu_metadata
